;; amdgpu-corpus repo=ROCm/rocFFT kind=compiled arch=gfx950 opt=O3
	.text
	.amdgcn_target "amdgcn-amd-amdhsa--gfx950"
	.amdhsa_code_object_version 6
	.protected	bluestein_single_fwd_len640_dim1_dp_op_CI_CI ; -- Begin function bluestein_single_fwd_len640_dim1_dp_op_CI_CI
	.globl	bluestein_single_fwd_len640_dim1_dp_op_CI_CI
	.p2align	8
	.type	bluestein_single_fwd_len640_dim1_dp_op_CI_CI,@function
bluestein_single_fwd_len640_dim1_dp_op_CI_CI: ; @bluestein_single_fwd_len640_dim1_dp_op_CI_CI
; %bb.0:
	s_load_dwordx4 s[12:15], s[0:1], 0x28
	v_lshrrev_b32_e32 v1, 6, v0
	v_lshl_or_b32 v192, s2, 1, v1
	v_mov_b32_e32 v1, 0
	v_mov_b32_e32 v193, v1
	s_waitcnt lgkmcnt(0)
	v_cmp_gt_u64_e32 vcc, s[12:13], v[192:193]
	s_and_saveexec_b64 s[2:3], vcc
	s_cbranch_execz .LBB0_23
; %bb.1:
	s_load_dwordx4 s[4:7], s[0:1], 0x18
	s_load_dwordx2 s[2:3], s[0:1], 0x0
	v_and_b32_e32 v196, 63, v0
	v_mov_b32_e32 v2, s14
	v_mov_b32_e32 v3, s15
	s_waitcnt lgkmcnt(0)
	s_load_dwordx4 s[8:11], s[4:5], 0x0
	v_lshlrev_b32_e32 v194, 4, v196
	v_mov_b32_e32 v195, v1
	v_lshl_add_u64 v[190:191], s[2:3], 0, v[194:195]
	v_and_b32_e32 v0, 64, v0
	s_waitcnt lgkmcnt(0)
	v_mad_u64_u32 v[4:5], s[4:5], s10, v192, 0
	v_mov_b32_e32 v8, v5
	v_mad_u64_u32 v[6:7], s[4:5], s8, v196, 0
	v_mad_u64_u32 v[8:9], s[4:5], s11, v192, v[8:9]
	v_mov_b32_e32 v5, v8
	v_mov_b32_e32 v8, v7
	v_mad_u64_u32 v[8:9], s[4:5], s9, v196, v[8:9]
	s_mul_i32 s4, s9, 0x50
	s_mul_hi_u32 s5, s8, 0x50
	v_mov_b32_e32 v7, v8
	v_lshl_add_u64 v[2:3], v[4:5], 4, v[2:3]
	s_add_i32 s5, s5, s4
	s_mul_i32 s4, s8, 0x50
	v_lshl_add_u64 v[6:7], v[6:7], 4, v[2:3]
	s_lshl_b64 s[12:13], s[4:5], 4
	global_load_dwordx4 v[2:5], v194, s[2:3]
	global_load_dwordx4 v[40:43], v[6:7], off
	v_lshl_add_u64 v[6:7], v[6:7], 0, s[12:13]
	global_load_dwordx4 v[44:47], v[6:7], off
	global_load_dwordx4 v[22:25], v194, s[2:3] offset:1280
	v_lshl_add_u64 v[10:11], v[6:7], 0, s[12:13]
	v_lshl_add_u64 v[12:13], v[10:11], 0, s[12:13]
	s_movk_i32 s4, 0x1000
	global_load_dwordx4 v[6:9], v194, s[2:3] offset:2560
	global_load_dwordx4 v[48:51], v[10:11], off
	global_load_dwordx4 v[52:55], v[12:13], off
	global_load_dwordx4 v[18:21], v194, s[2:3] offset:3840
	v_lshl_add_u64 v[14:15], v[12:13], 0, s[12:13]
	v_add_co_u32_e32 v34, vcc, s4, v190
	v_or_b32_e32 v10, 0x140, v196
	global_load_dwordx4 v[56:59], v[14:15], off
	v_lshl_add_u64 v[14:15], v[14:15], 0, s[12:13]
	v_addc_co_u32_e32 v35, vcc, 0, v191, vcc
	v_lshlrev_b32_e32 v199, 4, v10
	global_load_dwordx4 v[60:63], v[14:15], off
	global_load_dwordx4 v[26:29], v[34:35], off offset:2304
	s_movk_i32 s4, 0x2000
	global_load_dwordx4 v[10:13], v199, s[2:3]
	v_lshl_add_u64 v[30:31], v[14:15], 0, s[12:13]
	v_add_co_u32_e32 v36, vcc, s4, v190
	global_load_dwordx4 v[64:67], v[30:31], off
	global_load_dwordx4 v[14:17], v[34:35], off offset:3584
	v_addc_co_u32_e32 v37, vcc, 0, v191, vcc
	v_lshl_add_u64 v[38:39], v[30:31], 0, s[12:13]
	global_load_dwordx4 v[30:33], v[36:37], off offset:768
	global_load_dwordx4 v[68:71], v[38:39], off
	v_mov_b32_e32 v72, 0x280
	v_cmp_ne_u32_e32 vcc, 0, v0
	s_load_dwordx2 s[10:11], s[0:1], 0x38
	s_mov_b64 s[14:15], 0x50
	v_cndmask_b32_e32 v198, 0, v72, vcc
	v_or_b32_e32 v0, v198, v196
	v_lshl_or_b32 v193, v198, 4, v194
	v_lshlrev_b32_e32 v197, 4, v0
	s_load_dwordx4 s[4:7], s[6:7], 0x0
	v_or_b32_e32 v0, 64, v196
	v_cmp_gt_u64_e32 vcc, s[14:15], v[0:1]
	s_waitcnt vmcnt(14)
	v_mul_f64 v[72:73], v[42:43], v[4:5]
	v_mul_f64 v[74:75], v[40:41], v[4:5]
	v_fmac_f64_e32 v[72:73], v[40:41], v[2:3]
	v_fma_f64 v[74:75], v[42:43], v[2:3], -v[74:75]
	s_waitcnt vmcnt(12)
	v_mul_f64 v[40:41], v[46:47], v[24:25]
	v_mul_f64 v[42:43], v[44:45], v[24:25]
	v_fmac_f64_e32 v[40:41], v[44:45], v[22:23]
	v_fma_f64 v[42:43], v[46:47], v[22:23], -v[42:43]
	ds_write_b128 v197, v[72:75]
	ds_write_b128 v193, v[40:43] offset:1280
	s_waitcnt vmcnt(8)
	v_mul_f64 v[40:41], v[54:55], v[20:21]
	v_mul_f64 v[42:43], v[52:53], v[20:21]
	;; [unrolled: 1-line block ×4, first 2 shown]
	v_fmac_f64_e32 v[40:41], v[52:53], v[18:19]
	v_fma_f64 v[42:43], v[54:55], v[18:19], -v[42:43]
	v_fmac_f64_e32 v[44:45], v[48:49], v[6:7]
	v_fma_f64 v[46:47], v[50:51], v[6:7], -v[46:47]
	ds_write_b128 v193, v[40:43] offset:3840
	s_waitcnt vmcnt(5)
	v_mul_f64 v[40:41], v[62:63], v[28:29]
	v_mul_f64 v[42:43], v[60:61], v[28:29]
	ds_write_b128 v193, v[44:47] offset:2560
	s_waitcnt vmcnt(4)
	v_mul_f64 v[44:45], v[58:59], v[12:13]
	v_mul_f64 v[46:47], v[56:57], v[12:13]
	v_fmac_f64_e32 v[40:41], v[60:61], v[26:27]
	v_fma_f64 v[42:43], v[62:63], v[26:27], -v[42:43]
	v_fmac_f64_e32 v[44:45], v[56:57], v[10:11]
	v_fma_f64 v[46:47], v[58:59], v[10:11], -v[46:47]
	ds_write_b128 v193, v[40:43] offset:6400
	s_waitcnt vmcnt(2)
	v_mul_f64 v[40:41], v[64:65], v[16:17]
	ds_write_b128 v193, v[44:47] offset:5120
	v_mul_f64 v[44:45], v[66:67], v[16:17]
	v_fma_f64 v[46:47], v[66:67], v[14:15], -v[40:41]
	s_waitcnt vmcnt(0)
	v_mul_f64 v[40:41], v[70:71], v[32:33]
	v_mul_f64 v[42:43], v[68:69], v[32:33]
	v_fmac_f64_e32 v[44:45], v[64:65], v[14:15]
	v_fmac_f64_e32 v[40:41], v[68:69], v[30:31]
	v_fma_f64 v[42:43], v[70:71], v[30:31], -v[42:43]
	ds_write_b128 v193, v[44:47] offset:7680
	ds_write_b128 v193, v[40:43] offset:8960
	s_and_saveexec_b64 s[14:15], vcc
	s_cbranch_execz .LBB0_3
; %bb.2:
	v_mov_b32_e32 v1, 0xffffe100
	s_mulk_i32 s9, 0xe100
	v_mad_u64_u32 v[46:47], s[16:17], s8, v1, v[38:39]
	s_sub_i32 s8, s9, s8
	v_add_u32_e32 v47, s8, v47
	global_load_dwordx4 v[38:41], v[46:47], off
	global_load_dwordx4 v[42:45], v[190:191], off offset:1024
	v_lshl_add_u64 v[54:55], v[46:47], 0, s[12:13]
	global_load_dwordx4 v[46:49], v[54:55], off
	global_load_dwordx4 v[50:53], v[190:191], off offset:2304
	v_lshl_add_u64 v[66:67], v[54:55], 0, s[12:13]
	v_lshl_add_u64 v[74:75], v[66:67], 0, s[12:13]
	global_load_dwordx4 v[54:57], v[66:67], off
	global_load_dwordx4 v[58:61], v[190:191], off offset:3584
	global_load_dwordx4 v[62:65], v[34:35], off offset:768
	v_mov_b32_e32 v1, 0x1800
	global_load_dwordx4 v[66:69], v[74:75], off
	v_lshl_add_u64 v[78:79], v[74:75], 0, s[12:13]
	v_lshl_or_b32 v1, v196, 4, v1
	v_lshl_add_u64 v[90:91], v[78:79], 0, s[12:13]
	global_load_dwordx4 v[70:73], v1, s[2:3]
	global_load_dwordx4 v[74:77], v[78:79], off
	s_nop 0
	global_load_dwordx4 v[78:81], v[90:91], off
	global_load_dwordx4 v[82:85], v[34:35], off offset:3328
	global_load_dwordx4 v[86:89], v[36:37], off offset:512
	v_lshl_add_u64 v[34:35], v[90:91], 0, s[12:13]
	global_load_dwordx4 v[90:93], v[34:35], off
	global_load_dwordx4 v[94:97], v[36:37], off offset:1792
	v_lshl_add_u64 v[34:35], v[34:35], 0, s[12:13]
	global_load_dwordx4 v[34:37], v[34:35], off
	s_waitcnt vmcnt(14)
	v_mul_f64 v[98:99], v[40:41], v[44:45]
	v_mul_f64 v[44:45], v[38:39], v[44:45]
	v_fmac_f64_e32 v[98:99], v[38:39], v[42:43]
	v_fma_f64 v[100:101], v[40:41], v[42:43], -v[44:45]
	s_waitcnt vmcnt(12)
	v_mul_f64 v[38:39], v[48:49], v[52:53]
	v_mul_f64 v[40:41], v[46:47], v[52:53]
	v_fmac_f64_e32 v[38:39], v[46:47], v[50:51]
	v_fma_f64 v[40:41], v[48:49], v[50:51], -v[40:41]
	s_waitcnt vmcnt(10)
	v_mul_f64 v[42:43], v[56:57], v[60:61]
	v_mul_f64 v[44:45], v[54:55], v[60:61]
	ds_write_b128 v193, v[38:41] offset:2304
	s_waitcnt vmcnt(8)
	v_mul_f64 v[38:39], v[68:69], v[64:65]
	v_mul_f64 v[40:41], v[66:67], v[64:65]
	v_fmac_f64_e32 v[42:43], v[54:55], v[58:59]
	v_fma_f64 v[44:45], v[56:57], v[58:59], -v[44:45]
	v_fmac_f64_e32 v[38:39], v[66:67], v[62:63]
	v_fma_f64 v[40:41], v[68:69], v[62:63], -v[40:41]
	ds_write_b128 v193, v[42:45] offset:3584
	s_waitcnt vmcnt(6)
	v_mul_f64 v[42:43], v[76:77], v[72:73]
	v_mul_f64 v[44:45], v[74:75], v[72:73]
	ds_write_b128 v193, v[38:41] offset:4864
	s_waitcnt vmcnt(4)
	v_mul_f64 v[38:39], v[80:81], v[84:85]
	v_mul_f64 v[40:41], v[78:79], v[84:85]
	v_fmac_f64_e32 v[42:43], v[74:75], v[70:71]
	v_fma_f64 v[44:45], v[76:77], v[70:71], -v[44:45]
	v_fmac_f64_e32 v[38:39], v[78:79], v[82:83]
	v_fma_f64 v[40:41], v[80:81], v[82:83], -v[40:41]
	ds_write_b128 v193, v[42:45] offset:6144
	;; [unrolled: 12-line block ×3, first 2 shown]
	ds_write_b128 v193, v[42:45] offset:8704
	ds_write_b128 v193, v[38:41] offset:9984
.LBB0_3:
	s_or_b64 exec, exec, s[14:15]
	s_waitcnt lgkmcnt(0)
	s_barrier
	ds_read_b128 v[86:89], v197
	ds_read_b128 v[70:73], v193 offset:1280
	ds_read_b128 v[78:81], v193 offset:2560
	ds_read_b128 v[66:69], v193 offset:3840
	ds_read_b128 v[94:97], v193 offset:5120
	ds_read_b128 v[82:85], v193 offset:6400
	ds_read_b128 v[90:93], v193 offset:7680
	ds_read_b128 v[74:77], v193 offset:8960
	s_load_dwordx2 s[0:1], s[0:1], 0x8
                                        ; implicit-def: $vgpr34_vgpr35
                                        ; implicit-def: $vgpr42_vgpr43
                                        ; implicit-def: $vgpr50_vgpr51
                                        ; implicit-def: $vgpr62_vgpr63
                                        ; implicit-def: $vgpr58_vgpr59
                                        ; implicit-def: $vgpr54_vgpr55
                                        ; implicit-def: $vgpr46_vgpr47
                                        ; implicit-def: $vgpr38_vgpr39
	s_and_saveexec_b64 s[8:9], vcc
	s_cbranch_execz .LBB0_5
; %bb.4:
	ds_read_b128 v[34:37], v193 offset:1024
	ds_read_b128 v[38:41], v193 offset:2304
	;; [unrolled: 1-line block ×8, first 2 shown]
.LBB0_5:
	s_or_b64 exec, exec, s[8:9]
	s_waitcnt lgkmcnt(0)
	v_add_f64 v[94:95], v[86:87], -v[94:95]
	v_add_f64 v[96:97], v[88:89], -v[96:97]
	;; [unrolled: 1-line block ×4, first 2 shown]
	v_fma_f64 v[86:87], v[86:87], 2.0, -v[94:95]
	v_fma_f64 v[88:89], v[88:89], 2.0, -v[96:97]
	;; [unrolled: 1-line block ×4, first 2 shown]
	v_add_f64 v[82:83], v[70:71], -v[82:83]
	v_add_f64 v[84:85], v[72:73], -v[84:85]
	;; [unrolled: 1-line block ×7, first 2 shown]
	v_add_f64 v[104:105], v[96:97], v[90:91]
	v_fma_f64 v[70:71], v[70:71], 2.0, -v[82:83]
	v_fma_f64 v[72:73], v[72:73], 2.0, -v[84:85]
	;; [unrolled: 1-line block ×8, first 2 shown]
	v_add_f64 v[94:95], v[82:83], -v[76:77]
	v_add_f64 v[96:97], v[84:85], v[74:75]
	s_mov_b32 s8, 0x667f3bcd
	v_add_f64 v[90:91], v[70:71], -v[66:67]
	v_add_f64 v[92:93], v[72:73], -v[68:69]
	v_fma_f64 v[82:83], v[82:83], 2.0, -v[94:95]
	v_fma_f64 v[84:85], v[84:85], 2.0, -v[96:97]
	s_mov_b32 s9, 0xbfe6a09e
	v_fma_f64 v[66:67], v[70:71], 2.0, -v[90:91]
	v_fma_f64 v[68:69], v[72:73], 2.0, -v[92:93]
	v_fma_f64 v[74:75], s[8:9], v[82:83], v[86:87]
	v_fma_f64 v[76:77], s[8:9], v[84:85], v[88:89]
	s_mov_b32 s13, 0x3fe6a09e
	s_mov_b32 s12, s8
	v_add_f64 v[66:67], v[78:79], -v[66:67]
	v_add_f64 v[68:69], v[80:81], -v[68:69]
	v_fmac_f64_e32 v[74:75], s[8:9], v[84:85]
	v_fmac_f64_e32 v[76:77], s[12:13], v[82:83]
	v_add_f64 v[82:83], v[98:99], -v[92:93]
	v_add_f64 v[84:85], v[100:101], v[90:91]
	v_add_f64 v[54:55], v[34:35], -v[54:55]
	v_add_f64 v[56:57], v[36:37], -v[56:57]
	v_add_f64 v[58:59], v[42:43], -v[58:59]
	v_add_f64 v[60:61], v[44:45], -v[60:61]
	v_add_f64 v[50:51], v[38:39], -v[50:51]
	v_add_f64 v[52:53], v[40:41], -v[52:53]
	v_add_f64 v[62:63], v[46:47], -v[62:63]
	v_add_f64 v[64:65], v[48:49], -v[64:65]
	v_fma_f64 v[70:71], v[78:79], 2.0, -v[66:67]
	v_fma_f64 v[72:73], v[80:81], 2.0, -v[68:69]
	;; [unrolled: 1-line block ×14, first 2 shown]
	v_add_f64 v[60:61], v[54:55], -v[60:61]
	v_add_f64 v[58:59], v[58:59], v[56:57]
	v_add_f64 v[64:65], v[50:51], -v[64:65]
	v_add_f64 v[62:63], v[62:63], v[52:53]
	v_add_f64 v[42:43], v[34:35], -v[42:43]
	v_add_f64 v[44:45], v[36:37], -v[44:45]
	v_fma_f64 v[38:39], v[54:55], 2.0, -v[60:61]
	v_fma_f64 v[40:41], v[56:57], 2.0, -v[58:59]
	v_add_f64 v[46:47], v[98:99], -v[46:47]
	v_add_f64 v[48:49], v[100:101], -v[48:49]
	v_fma_f64 v[50:51], v[50:51], 2.0, -v[64:65]
	v_fma_f64 v[52:53], v[52:53], 2.0, -v[62:63]
	v_fma_f64 v[146:147], s[12:13], v[64:65], v[60:61]
	v_fma_f64 v[148:149], s[12:13], v[62:63], v[58:59]
	;; [unrolled: 1-line block ×4, first 2 shown]
	v_fma_f64 v[34:35], v[34:35], 2.0, -v[42:43]
	v_fma_f64 v[36:37], v[36:37], 2.0, -v[44:45]
	v_fma_f64 v[54:55], v[98:99], 2.0, -v[46:47]
	v_fma_f64 v[56:57], v[100:101], 2.0, -v[48:49]
	v_fma_f64 v[138:139], s[8:9], v[50:51], v[38:39]
	v_fma_f64 v[140:141], s[8:9], v[52:53], v[40:41]
	v_add_f64 v[142:143], v[42:43], -v[48:49]
	v_add_f64 v[144:145], v[44:45], v[46:47]
	v_fmac_f64_e32 v[146:147], s[8:9], v[62:63]
	v_fmac_f64_e32 v[148:149], s[12:13], v[64:65]
	v_lshlrev_b32_e32 v1, 3, v196
	v_fmac_f64_e32 v[90:91], s[8:9], v[96:97]
	v_fmac_f64_e32 v[92:93], s[12:13], v[94:95]
	v_add_f64 v[130:131], v[34:35], -v[54:55]
	v_add_f64 v[132:133], v[36:37], -v[56:57]
	v_fmac_f64_e32 v[138:139], s[8:9], v[52:53]
	v_fmac_f64_e32 v[140:141], s[12:13], v[50:51]
	v_fma_f64 v[126:127], v[42:43], 2.0, -v[142:143]
	v_fma_f64 v[128:129], v[44:45], 2.0, -v[144:145]
	;; [unrolled: 1-line block ×4, first 2 shown]
	v_add_lshl_u32 v200, v198, v1, 4
	v_lshlrev_b32_e32 v201, 3, v0
	v_fma_f64 v[94:95], v[102:103], 2.0, -v[90:91]
	v_fma_f64 v[96:97], v[104:105], 2.0, -v[92:93]
	s_barrier
	ds_write_b128 v200, v[70:73]
	ds_write_b128 v200, v[78:81] offset:16
	ds_write_b128 v200, v[86:89] offset:32
	;; [unrolled: 1-line block ×7, first 2 shown]
	s_and_saveexec_b64 s[8:9], vcc
	s_cbranch_execz .LBB0_7
; %bb.6:
	v_fma_f64 v[36:37], v[36:37], 2.0, -v[132:133]
	v_fma_f64 v[34:35], v[34:35], 2.0, -v[130:131]
	v_add_lshl_u32 v1, v198, v201, 4
	v_fma_f64 v[40:41], v[40:41], 2.0, -v[140:141]
	v_fma_f64 v[38:39], v[38:39], 2.0, -v[138:139]
	ds_write_b128 v1, v[34:37]
	ds_write_b128 v1, v[38:41] offset:16
	ds_write_b128 v1, v[126:129] offset:32
	ds_write_b128 v1, v[134:137] offset:48
	ds_write_b128 v1, v[130:133] offset:64
	ds_write_b128 v1, v[138:141] offset:80
	ds_write_b128 v1, v[142:145] offset:96
	ds_write_b128 v1, v[146:149] offset:112
.LBB0_7:
	s_or_b64 exec, exec, s[8:9]
	v_and_b32_e32 v1, 7, v196
	s_movk_i32 s8, 0x90
	v_mov_b64_e32 v[34:35], s[0:1]
	v_mad_u64_u32 v[114:115], s[8:9], v1, s8, v[34:35]
	s_waitcnt lgkmcnt(0)
	s_barrier
	ds_read_b128 v[66:69], v197
	ds_read_b128 v[46:49], v193 offset:1024
	ds_read_b128 v[50:53], v193 offset:2048
	;; [unrolled: 1-line block ×9, first 2 shown]
	global_load_dwordx4 v[34:37], v[114:115], off offset:48
	global_load_dwordx4 v[38:41], v[114:115], off offset:32
	;; [unrolled: 1-line block ×3, first 2 shown]
	global_load_dwordx4 v[58:61], v[114:115], off
	s_mov_b32 s12, 0x134454ff
	s_mov_b32 s13, 0x3fee6f0e
	;; [unrolled: 1-line block ×12, first 2 shown]
	s_waitcnt vmcnt(3) lgkmcnt(5)
	v_mul_f64 v[92:93], v[62:63], v[36:37]
	s_waitcnt vmcnt(2)
	v_mul_f64 v[82:83], v[54:55], v[40:41]
	s_waitcnt vmcnt(1)
	;; [unrolled: 2-line block ×3, first 2 shown]
	v_mul_f64 v[78:79], v[48:49], v[60:61]
	v_fma_f64 v[78:79], v[46:47], v[58:59], -v[78:79]
	v_mul_f64 v[80:81], v[46:47], v[60:61]
	v_mul_f64 v[46:47], v[52:53], v[44:45]
	v_fma_f64 v[96:97], v[50:51], v[42:43], -v[46:47]
	v_mul_f64 v[46:47], v[56:57], v[40:41]
	v_fma_f64 v[84:85], v[54:55], v[38:39], -v[46:47]
	v_mul_f64 v[46:47], v[64:65], v[36:37]
	v_fmac_f64_e32 v[80:81], v[48:49], v[58:59]
	v_fmac_f64_e32 v[88:89], v[52:53], v[42:43]
	;; [unrolled: 1-line block ×3, first 2 shown]
	v_fma_f64 v[100:101], v[62:63], v[34:35], -v[46:47]
	v_fmac_f64_e32 v[92:93], v[64:65], v[34:35]
	global_load_dwordx4 v[46:49], v[114:115], off offset:112
	global_load_dwordx4 v[50:53], v[114:115], off offset:96
	;; [unrolled: 1-line block ×4, first 2 shown]
	v_add_f64 v[120:121], v[96:97], -v[100:101]
	s_waitcnt vmcnt(2) lgkmcnt(2)
	v_mul_f64 v[90:91], v[106:107], v[52:53]
	s_waitcnt vmcnt(1)
	v_mul_f64 v[118:119], v[102:103], v[56:57]
	s_waitcnt vmcnt(0)
	v_mul_f64 v[86:87], v[76:77], v[64:65]
	v_fma_f64 v[94:95], v[74:75], v[62:63], -v[86:87]
	v_mul_f64 v[86:87], v[74:75], v[64:65]
	v_mul_f64 v[74:75], v[104:105], v[56:57]
	v_fma_f64 v[116:117], v[102:103], v[54:55], -v[74:75]
	v_mul_f64 v[74:75], v[108:109], v[52:53]
	v_fma_f64 v[98:99], v[106:107], v[50:51], -v[74:75]
	s_waitcnt lgkmcnt(1)
	v_mul_f64 v[74:75], v[112:113], v[48:49]
	v_fmac_f64_e32 v[86:87], v[76:77], v[62:63]
	v_fma_f64 v[106:107], v[110:111], v[46:47], -v[74:75]
	global_load_dwordx4 v[74:77], v[114:115], off offset:128
	v_fmac_f64_e32 v[118:119], v[104:105], v[54:55]
	v_fmac_f64_e32 v[90:91], v[108:109], v[50:51]
	v_mul_f64 v[108:109], v[110:111], v[48:49]
	v_fmac_f64_e32 v[108:109], v[112:113], v[46:47]
	v_add_f64 v[112:113], v[88:89], -v[108:109]
	v_add_f64 v[114:115], v[92:93], -v[118:119]
	;; [unrolled: 1-line block ×3, first 2 shown]
	v_add_f64 v[120:121], v[120:121], v[122:123]
	v_add_f64 v[122:123], v[100:101], -v[96:97]
	v_add_f64 v[124:125], v[116:117], -v[106:107]
	v_add_f64 v[122:123], v[122:123], v[124:125]
	s_waitcnt lgkmcnt(0)
	s_barrier
	s_waitcnt vmcnt(0)
	v_mul_f64 v[102:103], v[72:73], v[76:77]
	v_fma_f64 v[110:111], v[70:71], v[74:75], -v[102:103]
	v_mul_f64 v[104:105], v[70:71], v[76:77]
	v_add_f64 v[70:71], v[66:67], v[96:97]
	v_add_f64 v[70:71], v[70:71], v[100:101]
	;; [unrolled: 1-line block ×3, first 2 shown]
	v_fmac_f64_e32 v[104:105], v[72:73], v[74:75]
	v_add_f64 v[72:73], v[70:71], v[106:107]
	v_add_f64 v[70:71], v[100:101], v[116:117]
	v_fma_f64 v[70:71], -0.5, v[70:71], v[66:67]
	v_fma_f64 v[102:103], s[12:13], v[112:113], v[70:71]
	v_fmac_f64_e32 v[70:71], s[16:17], v[112:113]
	v_fmac_f64_e32 v[102:103], s[14:15], v[114:115]
	;; [unrolled: 1-line block ×5, first 2 shown]
	v_add_f64 v[120:121], v[96:97], v[106:107]
	v_fmac_f64_e32 v[66:67], -0.5, v[120:121]
	v_fma_f64 v[120:121], s[16:17], v[114:115], v[66:67]
	v_fmac_f64_e32 v[66:67], s[12:13], v[114:115]
	v_add_f64 v[114:115], v[92:93], v[118:119]
	v_fmac_f64_e32 v[120:121], s[14:15], v[112:113]
	v_fmac_f64_e32 v[66:67], s[18:19], v[112:113]
	v_fma_f64 v[114:115], -0.5, v[114:115], v[68:69]
	v_add_f64 v[96:97], v[96:97], -v[106:107]
	v_fmac_f64_e32 v[120:121], s[8:9], v[122:123]
	v_fmac_f64_e32 v[66:67], s[8:9], v[122:123]
	v_fma_f64 v[122:123], s[16:17], v[96:97], v[114:115]
	v_add_f64 v[100:101], v[100:101], -v[116:117]
	v_add_f64 v[106:107], v[88:89], -v[92:93]
	;; [unrolled: 1-line block ×3, first 2 shown]
	v_fmac_f64_e32 v[114:115], s[12:13], v[96:97]
	v_fmac_f64_e32 v[122:123], s[18:19], v[100:101]
	v_add_f64 v[106:107], v[106:107], v[116:117]
	v_fmac_f64_e32 v[114:115], s[14:15], v[100:101]
	v_fmac_f64_e32 v[122:123], s[8:9], v[106:107]
	;; [unrolled: 1-line block ×3, first 2 shown]
	v_add_f64 v[106:107], v[88:89], v[108:109]
	v_add_f64 v[112:113], v[68:69], v[88:89]
	v_fmac_f64_e32 v[68:69], -0.5, v[106:107]
	v_add_f64 v[112:113], v[112:113], v[92:93]
	v_fma_f64 v[116:117], s[12:13], v[100:101], v[68:69]
	v_add_f64 v[88:89], v[92:93], -v[88:89]
	v_add_f64 v[92:93], v[118:119], -v[108:109]
	v_fmac_f64_e32 v[68:69], s[16:17], v[100:101]
	v_fmac_f64_e32 v[116:117], s[18:19], v[96:97]
	v_add_f64 v[88:89], v[88:89], v[92:93]
	v_fmac_f64_e32 v[68:69], s[14:15], v[96:97]
	v_fmac_f64_e32 v[116:117], s[8:9], v[88:89]
	;; [unrolled: 1-line block ×3, first 2 shown]
	v_add_f64 v[88:89], v[78:79], v[84:85]
	v_add_f64 v[88:89], v[88:89], v[94:95]
	;; [unrolled: 1-line block ×6, first 2 shown]
	v_fma_f64 v[100:101], -0.5, v[88:89], v[78:79]
	v_add_f64 v[88:89], v[82:83], -v[104:105]
	v_add_f64 v[112:113], v[112:113], v[108:109]
	v_fma_f64 v[92:93], s[12:13], v[88:89], v[100:101]
	v_add_f64 v[96:97], v[86:87], -v[90:91]
	v_add_f64 v[108:109], v[84:85], -v[94:95]
	;; [unrolled: 1-line block ×3, first 2 shown]
	v_fmac_f64_e32 v[100:101], s[16:17], v[88:89]
	v_fmac_f64_e32 v[92:93], s[14:15], v[96:97]
	v_add_f64 v[108:109], v[108:109], v[118:119]
	v_fmac_f64_e32 v[100:101], s[18:19], v[96:97]
	v_fmac_f64_e32 v[92:93], s[8:9], v[108:109]
	;; [unrolled: 1-line block ×3, first 2 shown]
	v_add_f64 v[108:109], v[84:85], v[110:111]
	v_fmac_f64_e32 v[78:79], -0.5, v[108:109]
	v_fma_f64 v[108:109], s[16:17], v[96:97], v[78:79]
	v_fmac_f64_e32 v[78:79], s[12:13], v[96:97]
	v_fmac_f64_e32 v[108:109], s[14:15], v[88:89]
	;; [unrolled: 1-line block ×3, first 2 shown]
	v_add_f64 v[88:89], v[80:81], v[82:83]
	v_add_f64 v[118:119], v[94:95], -v[84:85]
	v_add_f64 v[124:125], v[98:99], -v[110:111]
	v_add_f64 v[88:89], v[88:89], v[86:87]
	v_add_f64 v[118:119], v[118:119], v[124:125]
	;; [unrolled: 1-line block ×3, first 2 shown]
	v_fmac_f64_e32 v[108:109], s[8:9], v[118:119]
	v_fmac_f64_e32 v[78:79], s[8:9], v[118:119]
	v_add_f64 v[118:119], v[88:89], v[104:105]
	v_add_f64 v[88:89], v[86:87], v[90:91]
	v_fma_f64 v[124:125], -0.5, v[88:89], v[80:81]
	v_add_f64 v[84:85], v[84:85], -v[110:111]
	v_fma_f64 v[88:89], s[16:17], v[84:85], v[124:125]
	v_add_f64 v[94:95], v[94:95], -v[98:99]
	v_add_f64 v[96:97], v[82:83], -v[86:87]
	;; [unrolled: 1-line block ×3, first 2 shown]
	v_fmac_f64_e32 v[124:125], s[12:13], v[84:85]
	v_fmac_f64_e32 v[88:89], s[18:19], v[94:95]
	v_add_f64 v[96:97], v[96:97], v[98:99]
	v_fmac_f64_e32 v[124:125], s[14:15], v[94:95]
	v_fmac_f64_e32 v[88:89], s[8:9], v[96:97]
	;; [unrolled: 1-line block ×3, first 2 shown]
	v_add_f64 v[96:97], v[82:83], v[104:105]
	v_fmac_f64_e32 v[80:81], -0.5, v[96:97]
	v_fma_f64 v[96:97], s[12:13], v[94:95], v[80:81]
	v_add_f64 v[82:83], v[86:87], -v[82:83]
	v_add_f64 v[86:87], v[90:91], -v[104:105]
	v_fmac_f64_e32 v[80:81], s[16:17], v[94:95]
	v_add_f64 v[82:83], v[82:83], v[86:87]
	v_fmac_f64_e32 v[80:81], s[14:15], v[84:85]
	v_fmac_f64_e32 v[96:97], s[18:19], v[84:85]
	;; [unrolled: 1-line block ×3, first 2 shown]
	v_mul_f64 v[84:85], v[78:79], s[8:9]
	v_fma_f64 v[150:151], v[80:81], s[12:13], -v[84:85]
	v_fmac_f64_e32 v[96:97], s[8:9], v[82:83]
	v_add_f64 v[94:95], v[66:67], v[150:151]
	v_add_f64 v[150:151], v[66:67], -v[150:151]
	v_lshrrev_b32_e32 v66, 3, v196
	v_mul_f64 v[110:111], v[96:97], s[12:13]
	v_mul_f64 v[80:81], v[80:81], s[8:9]
	v_mul_u32_u24_e32 v66, 0x50, v66
	v_mul_f64 v[104:105], v[88:89], s[14:15]
	v_fmac_f64_e32 v[110:111], s[8:9], v[108:109]
	v_mul_f64 v[84:85], v[100:101], s[20:21]
	v_mul_f64 v[156:157], v[92:93], s[18:19]
	;; [unrolled: 1-line block ×3, first 2 shown]
	v_fma_f64 v[158:159], v[78:79], s[16:17], -v[80:81]
	v_mul_f64 v[78:79], v[124:125], s[20:21]
	v_or_b32_e32 v1, v66, v1
	v_add_f64 v[82:83], v[72:73], v[106:107]
	v_fmac_f64_e32 v[104:105], s[20:21], v[92:93]
	v_fma_f64 v[152:153], v[124:125], s[14:15], -v[84:85]
	v_add_f64 v[84:85], v[112:113], v[118:119]
	v_fmac_f64_e32 v[156:157], s[20:21], v[88:89]
	v_fmac_f64_e32 v[108:109], s[8:9], v[96:97]
	v_fma_f64 v[124:125], v[100:101], s[18:19], -v[78:79]
	v_add_lshl_u32 v202, v198, v1, 4
	v_add_f64 v[86:87], v[102:103], v[104:105]
	v_add_f64 v[90:91], v[120:121], v[110:111]
	;; [unrolled: 1-line block ×7, first 2 shown]
	v_add_f64 v[78:79], v[72:73], -v[106:107]
	v_add_f64 v[102:103], v[102:103], -v[104:105]
	;; [unrolled: 1-line block ×9, first 2 shown]
	ds_write_b128 v202, v[82:85]
	ds_write_b128 v202, v[86:89] offset:128
	ds_write_b128 v202, v[90:93] offset:256
	;; [unrolled: 1-line block ×9, first 2 shown]
	s_waitcnt lgkmcnt(0)
	s_barrier
	ds_read_b128 v[158:161], v197
	ds_read_b128 v[186:189], v193 offset:1280
	ds_read_b128 v[182:185], v193 offset:2560
	;; [unrolled: 1-line block ×7, first 2 shown]
	s_and_saveexec_b64 s[8:9], vcc
	s_cbranch_execz .LBB0_9
; %bb.8:
	ds_read_b128 v[150:153], v193 offset:1024
	ds_read_b128 v[154:157], v193 offset:2304
	;; [unrolled: 1-line block ×8, first 2 shown]
.LBB0_9:
	s_or_b64 exec, exec, s[8:9]
	v_add_u32_e32 v1, -16, v196
	s_movk_i32 s8, 0x70
	v_mov_b64_e32 v[66:67], s[0:1]
	v_cndmask_b32_e32 v0, v1, v0, vcc
	v_mad_u64_u32 v[66:67], s[8:9], v196, s8, v[66:67]
	v_mul_hi_i32_i24_e32 v1, 0x70, v0
	v_mul_i32_i24_e32 v0, 0x70, v0
	global_load_dwordx4 v[110:113], v[66:67], off offset:1152
	global_load_dwordx4 v[106:109], v[66:67], off offset:1168
	;; [unrolled: 1-line block ×7, first 2 shown]
	v_lshl_add_u64 v[0:1], s[0:1], 0, v[0:1]
	global_load_dwordx4 v[78:81], v[0:1], off offset:1152
	global_load_dwordx4 v[70:73], v[0:1], off offset:1168
	;; [unrolled: 1-line block ×7, first 2 shown]
	s_mov_b32 s0, 0x667f3bcd
	s_mov_b32 s1, 0xbfe6a09e
	;; [unrolled: 1-line block ×4, first 2 shown]
	s_waitcnt vmcnt(13) lgkmcnt(6)
	v_mul_f64 v[0:1], v[188:189], v[112:113]
	v_mul_f64 v[204:205], v[186:187], v[112:113]
	s_waitcnt vmcnt(12) lgkmcnt(5)
	v_mul_f64 v[206:207], v[184:185], v[108:109]
	s_waitcnt vmcnt(10) lgkmcnt(3)
	v_mul_f64 v[214:215], v[176:177], v[100:101]
	v_mul_f64 v[216:217], v[174:175], v[100:101]
	;; [unrolled: 1-line block ×5, first 2 shown]
	s_waitcnt vmcnt(9) lgkmcnt(2)
	v_mul_f64 v[218:219], v[172:173], v[124:125]
	v_mul_f64 v[220:221], v[170:171], v[124:125]
	s_waitcnt vmcnt(8) lgkmcnt(1)
	v_mul_f64 v[222:223], v[168:169], v[120:121]
	v_mul_f64 v[224:225], v[166:167], v[120:121]
	;; [unrolled: 3-line block ×3, first 2 shown]
	v_fma_f64 v[174:175], v[174:175], v[98:99], -v[214:215]
	v_fmac_f64_e32 v[216:217], v[176:177], v[98:99]
	v_fma_f64 v[0:1], v[186:187], v[110:111], -v[0:1]
	v_fmac_f64_e32 v[204:205], v[188:189], v[110:111]
	;; [unrolled: 2-line block ×7, first 2 shown]
	s_waitcnt vmcnt(4)
	v_mul_f64 v[214:215], v[134:135], v[84:85]
	s_waitcnt vmcnt(3)
	v_mul_f64 v[218:219], v[130:131], v[68:69]
	;; [unrolled: 2-line block ×3, first 2 shown]
	v_mul_f64 v[222:223], v[138:139], v[92:93]
	s_waitcnt vmcnt(0)
	v_mul_f64 v[186:187], v[148:149], v[96:97]
	v_mul_f64 v[230:231], v[146:147], v[96:97]
	v_add_f64 v[174:175], v[158:159], -v[174:175]
	v_add_f64 v[188:189], v[160:161], -v[216:217]
	v_mul_f64 v[164:165], v[156:157], v[80:81]
	v_mul_f64 v[206:207], v[154:155], v[80:81]
	;; [unrolled: 1-line block ×7, first 2 shown]
	v_add_f64 v[166:167], v[182:183], -v[166:167]
	v_add_f64 v[216:217], v[208:209], -v[224:225]
	v_fmac_f64_e32 v[214:215], v[136:137], v[82:83]
	v_fmac_f64_e32 v[218:219], v[132:133], v[66:67]
	v_fma_f64 v[132:133], v[138:139], v[90:91], -v[180:181]
	v_fmac_f64_e32 v[222:223], v[140:141], v[90:91]
	v_fma_f64 v[136:137], v[146:147], v[94:95], -v[186:187]
	v_fmac_f64_e32 v[230:231], v[148:149], v[94:95]
	v_fma_f64 v[138:139], v[158:159], 2.0, -v[174:175]
	v_fma_f64 v[140:141], v[160:161], 2.0, -v[188:189]
	v_add_f64 v[146:147], v[0:1], -v[170:171]
	v_add_f64 v[148:149], v[204:205], -v[220:221]
	;; [unrolled: 1-line block ×4, first 2 shown]
	v_mul_f64 v[168:169], v[128:129], v[72:73]
	v_fma_f64 v[154:155], v[154:155], v[78:79], -v[164:165]
	v_fmac_f64_e32 v[206:207], v[156:157], v[78:79]
	v_fmac_f64_e32 v[210:211], v[128:129], v[70:71]
	v_fma_f64 v[128:129], v[134:135], v[82:83], -v[172:173]
	v_fma_f64 v[134:135], v[142:143], v[86:87], -v[184:185]
	v_fmac_f64_e32 v[226:227], v[144:145], v[86:87]
	v_fma_f64 v[142:143], v[182:183], 2.0, -v[166:167]
	v_fma_f64 v[144:145], v[208:209], 2.0, -v[216:217]
	;; [unrolled: 1-line block ×6, first 2 shown]
	v_add_f64 v[186:187], v[174:175], -v[216:217]
	v_add_f64 v[204:205], v[188:189], v[166:167]
	v_add_f64 v[208:209], v[148:149], v[158:159]
	v_fma_f64 v[130:131], v[130:131], v[66:67], -v[176:177]
	v_add_f64 v[142:143], v[138:139], -v[142:143]
	v_add_f64 v[144:145], v[140:141], -v[144:145]
	v_fma_f64 v[170:171], v[174:175], 2.0, -v[186:187]
	v_fma_f64 v[172:173], v[188:189], 2.0, -v[204:205]
	v_add_f64 v[176:177], v[0:1], -v[162:163]
	v_add_f64 v[174:175], v[156:157], -v[164:165]
	;; [unrolled: 1-line block ×3, first 2 shown]
	v_fma_f64 v[148:149], v[148:149], 2.0, -v[208:209]
	v_fma_f64 v[126:127], v[126:127], v[70:71], -v[168:169]
	v_fma_f64 v[138:139], v[138:139], 2.0, -v[142:143]
	v_fma_f64 v[140:141], v[140:141], 2.0, -v[144:145]
	;; [unrolled: 1-line block ×5, first 2 shown]
	v_fma_f64 v[168:169], s[0:1], v[148:149], v[172:173]
	v_add_f64 v[174:175], v[142:143], -v[174:175]
	v_add_f64 v[158:159], v[138:139], -v[0:1]
	;; [unrolled: 1-line block ×3, first 2 shown]
	v_fma_f64 v[166:167], s[0:1], v[146:147], v[170:171]
	v_fmac_f64_e32 v[168:169], s[8:9], v[146:147]
	v_add_f64 v[176:177], v[144:145], v[176:177]
	v_fma_f64 v[178:179], v[142:143], 2.0, -v[174:175]
	v_fma_f64 v[184:185], s[8:9], v[208:209], v[204:205]
	v_add_f64 v[0:1], v[150:151], -v[130:131]
	v_add_f64 v[130:131], v[152:153], -v[218:219]
	;; [unrolled: 1-line block ×7, first 2 shown]
	v_fma_f64 v[162:163], v[138:139], 2.0, -v[158:159]
	v_fma_f64 v[164:165], v[140:141], 2.0, -v[160:161]
	v_fmac_f64_e32 v[166:167], s[0:1], v[148:149]
	v_fma_f64 v[180:181], v[144:145], 2.0, -v[176:177]
	v_fma_f64 v[182:183], s[8:9], v[188:189], v[186:187]
	v_fmac_f64_e32 v[184:185], s[8:9], v[188:189]
	v_fma_f64 v[138:139], v[150:151], 2.0, -v[0:1]
	v_fma_f64 v[140:141], v[152:153], 2.0, -v[130:131]
	v_fma_f64 v[126:127], v[126:127], 2.0, -v[134:135]
	v_fma_f64 v[144:145], v[210:211], 2.0, -v[142:143]
	v_fma_f64 v[148:149], v[154:155], 2.0, -v[132:133]
	v_fma_f64 v[150:151], v[206:207], 2.0, -v[146:147]
	v_add_f64 v[152:153], v[214:215], -v[230:231]
	v_fma_f64 v[128:129], v[128:129], 2.0, -v[136:137]
	v_add_f64 v[206:207], v[130:131], v[134:135]
	v_add_f64 v[212:213], v[146:147], v[136:137]
	v_fmac_f64_e32 v[182:183], s[0:1], v[208:209]
	v_fma_f64 v[188:189], v[204:205], 2.0, -v[184:185]
	v_fma_f64 v[154:155], v[214:215], 2.0, -v[152:153]
	v_add_f64 v[156:157], v[138:139], -v[126:127]
	v_add_f64 v[204:205], v[140:141], -v[144:145]
	v_fma_f64 v[134:135], v[130:131], 2.0, -v[206:207]
	v_add_f64 v[208:209], v[148:149], -v[128:129]
	v_add_f64 v[210:211], v[132:133], -v[152:153]
	v_fma_f64 v[136:137], v[146:147], 2.0, -v[212:213]
	v_fma_f64 v[126:127], v[138:139], 2.0, -v[156:157]
	;; [unrolled: 1-line block ×3, first 2 shown]
	v_add_f64 v[140:141], v[0:1], -v[142:143]
	v_add_f64 v[154:155], v[150:151], -v[154:155]
	v_fma_f64 v[128:129], v[148:149], 2.0, -v[208:209]
	v_fma_f64 v[132:133], v[132:133], 2.0, -v[210:211]
	v_fma_f64 v[148:149], s[0:1], v[136:137], v[134:135]
	v_fma_f64 v[0:1], v[0:1], 2.0, -v[140:141]
	v_fma_f64 v[130:131], v[150:151], 2.0, -v[154:155]
	v_fmac_f64_e32 v[148:149], s[8:9], v[132:133]
	v_add_f64 v[150:151], v[156:157], -v[154:155]
	v_fma_f64 v[146:147], s[0:1], v[132:133], v[0:1]
	v_fma_f64 v[132:133], v[134:135], 2.0, -v[148:149]
	v_fma_f64 v[134:135], v[156:157], 2.0, -v[150:151]
	v_fma_f64 v[154:155], s[8:9], v[210:211], v[140:141]
	v_fma_f64 v[156:157], s[8:9], v[212:213], v[206:207]
	v_add_f64 v[142:143], v[126:127], -v[128:129]
	v_add_f64 v[144:145], v[138:139], -v[130:131]
	v_fmac_f64_e32 v[146:147], s[0:1], v[136:137]
	v_add_f64 v[152:153], v[204:205], v[208:209]
	v_fmac_f64_e32 v[154:155], s[0:1], v[212:213]
	v_fmac_f64_e32 v[156:157], s[8:9], v[210:211]
	v_fma_f64 v[126:127], v[126:127], 2.0, -v[142:143]
	v_fma_f64 v[128:129], v[138:139], 2.0, -v[144:145]
	;; [unrolled: 1-line block ×9, first 2 shown]
	ds_write_b128 v197, v[162:165]
	ds_write_b128 v193, v[170:173] offset:1280
	ds_write_b128 v193, v[178:181] offset:2560
	ds_write_b128 v193, v[186:189] offset:3840
	ds_write_b128 v193, v[158:161] offset:5120
	ds_write_b128 v193, v[166:169] offset:6400
	ds_write_b128 v193, v[174:177] offset:7680
	ds_write_b128 v193, v[182:185] offset:8960
	s_and_saveexec_b64 s[0:1], vcc
	s_cbranch_execz .LBB0_11
; %bb.10:
	ds_write_b128 v193, v[126:129] offset:1024
	ds_write_b128 v193, v[130:133] offset:2304
	;; [unrolled: 1-line block ×8, first 2 shown]
.LBB0_11:
	s_or_b64 exec, exec, s[0:1]
	s_add_u32 s8, s2, 0x2800
	s_addc_u32 s9, s3, 0
	s_waitcnt lgkmcnt(0)
	s_barrier
	global_load_dwordx4 v[158:161], v194, s[8:9]
	v_mov_b32_e32 v195, 0
	s_movk_i32 s0, 0x1000
	v_lshl_add_u64 v[164:165], s[8:9], 0, v[194:195]
	v_add_co_u32_e64 v162, s[0:1], s0, v164
	s_movk_i32 s12, 0x2000
	s_nop 0
	v_addc_co_u32_e64 v163, s[0:1], 0, v165, s[0:1]
	v_add_co_u32_e64 v0, s[0:1], s12, v164
	global_load_dwordx4 v[166:169], v194, s[8:9] offset:1280
	global_load_dwordx4 v[170:173], v194, s[8:9] offset:2560
	;; [unrolled: 1-line block ×3, first 2 shown]
	v_addc_co_u32_e64 v1, s[0:1], 0, v165, s[0:1]
	global_load_dwordx4 v[178:181], v199, s[8:9]
	global_load_dwordx4 v[182:185], v[162:163], off offset:2304
	global_load_dwordx4 v[186:189], v[162:163], off offset:3584
	;; [unrolled: 1-line block ×3, first 2 shown]
	ds_read_b128 v[208:211], v197
	v_or_b32_e32 v199, 0x180, v196
	s_waitcnt vmcnt(7) lgkmcnt(0)
	v_mul_f64 v[194:195], v[210:211], v[160:161]
	v_mul_f64 v[214:215], v[208:209], v[160:161]
	v_fma_f64 v[212:213], v[208:209], v[158:159], -v[194:195]
	v_fmac_f64_e32 v[214:215], v[210:211], v[158:159]
	ds_write_b128 v197, v[212:215]
	ds_read_b128 v[158:161], v193 offset:1280
	ds_read_b128 v[208:211], v193 offset:2560
	;; [unrolled: 1-line block ×7, first 2 shown]
	s_waitcnt vmcnt(6) lgkmcnt(6)
	v_mul_f64 v[194:195], v[160:161], v[168:169]
	v_mul_f64 v[234:235], v[158:159], v[168:169]
	s_waitcnt vmcnt(5) lgkmcnt(5)
	v_mul_f64 v[236:237], v[210:211], v[172:173]
	v_mul_f64 v[168:169], v[208:209], v[172:173]
	s_waitcnt vmcnt(4) lgkmcnt(4)
	v_mul_f64 v[238:239], v[214:215], v[176:177]
	v_mul_f64 v[172:173], v[212:213], v[176:177]
	s_waitcnt vmcnt(3) lgkmcnt(3)
	v_mul_f64 v[240:241], v[218:219], v[180:181]
	v_mul_f64 v[176:177], v[216:217], v[180:181]
	s_waitcnt vmcnt(2) lgkmcnt(2)
	v_mul_f64 v[242:243], v[222:223], v[184:185]
	v_mul_f64 v[180:181], v[220:221], v[184:185]
	s_waitcnt vmcnt(1) lgkmcnt(1)
	v_mul_f64 v[244:245], v[226:227], v[188:189]
	v_mul_f64 v[184:185], v[224:225], v[188:189]
	s_waitcnt vmcnt(0) lgkmcnt(0)
	v_mul_f64 v[246:247], v[230:231], v[206:207]
	v_mul_f64 v[188:189], v[228:229], v[206:207]
	v_fma_f64 v[232:233], v[158:159], v[166:167], -v[194:195]
	v_fmac_f64_e32 v[234:235], v[160:161], v[166:167]
	v_lshlrev_b32_e32 v194, 4, v199
	v_fma_f64 v[166:167], v[208:209], v[170:171], -v[236:237]
	v_fmac_f64_e32 v[168:169], v[210:211], v[170:171]
	v_fma_f64 v[170:171], v[212:213], v[174:175], -v[238:239]
	v_fmac_f64_e32 v[172:173], v[214:215], v[174:175]
	;; [unrolled: 2-line block ×6, first 2 shown]
	ds_write_b128 v193, v[232:235] offset:1280
	ds_write_b128 v193, v[166:169] offset:2560
	;; [unrolled: 1-line block ×7, first 2 shown]
	s_and_saveexec_b64 s[0:1], vcc
	s_cbranch_execz .LBB0_13
; %bb.12:
	global_load_dwordx4 v[158:161], v[164:165], off offset:1024
	global_load_dwordx4 v[166:169], v[164:165], off offset:2304
	;; [unrolled: 1-line block ×4, first 2 shown]
	global_load_dwordx4 v[178:181], v194, s[8:9]
	s_nop 0
	global_load_dwordx4 v[162:165], v[162:163], off offset:3328
	s_nop 0
	global_load_dwordx4 v[182:185], v[0:1], off offset:512
	global_load_dwordx4 v[186:189], v[0:1], off offset:1792
	ds_read_b128 v[204:207], v193 offset:1024
	ds_read_b128 v[208:211], v193 offset:2304
	;; [unrolled: 1-line block ×8, first 2 shown]
	s_waitcnt vmcnt(7) lgkmcnt(7)
	v_mul_f64 v[0:1], v[206:207], v[160:161]
	v_mul_f64 v[238:239], v[204:205], v[160:161]
	s_waitcnt vmcnt(6) lgkmcnt(6)
	v_mul_f64 v[240:241], v[210:211], v[168:169]
	v_mul_f64 v[160:161], v[208:209], v[168:169]
	;; [unrolled: 3-line block ×8, first 2 shown]
	v_fma_f64 v[236:237], v[204:205], v[158:159], -v[0:1]
	v_fmac_f64_e32 v[238:239], v[206:207], v[158:159]
	v_fma_f64 v[158:159], v[208:209], v[166:167], -v[240:241]
	v_fmac_f64_e32 v[160:161], v[210:211], v[166:167]
	;; [unrolled: 2-line block ×8, first 2 shown]
	ds_write_b128 v193, v[236:239] offset:1024
	ds_write_b128 v193, v[158:161] offset:2304
	;; [unrolled: 1-line block ×8, first 2 shown]
.LBB0_13:
	s_or_b64 exec, exec, s[0:1]
	s_waitcnt lgkmcnt(0)
	s_barrier
	ds_read_b128 v[178:181], v197
	ds_read_b128 v[162:165], v193 offset:1280
	ds_read_b128 v[170:173], v193 offset:2560
	;; [unrolled: 1-line block ×7, first 2 shown]
	s_and_saveexec_b64 s[0:1], vcc
	s_cbranch_execz .LBB0_15
; %bb.14:
	ds_read_b128 v[126:129], v193 offset:1024
	ds_read_b128 v[130:133], v193 offset:2304
	;; [unrolled: 1-line block ×8, first 2 shown]
.LBB0_15:
	s_or_b64 exec, exec, s[0:1]
	s_waitcnt lgkmcnt(3)
	v_add_f64 v[0:1], v[178:179], -v[186:187]
	s_waitcnt lgkmcnt(1)
	v_add_f64 v[182:183], v[170:171], -v[182:183]
	v_add_f64 v[186:187], v[180:181], -v[188:189]
	v_fma_f64 v[178:179], v[178:179], 2.0, -v[0:1]
	v_add_f64 v[184:185], v[172:173], -v[184:185]
	v_fma_f64 v[170:171], v[170:171], 2.0, -v[182:183]
	v_fma_f64 v[180:181], v[180:181], 2.0, -v[186:187]
	v_fma_f64 v[172:173], v[172:173], 2.0, -v[184:185]
	v_add_f64 v[174:175], v[162:163], -v[174:175]
	s_waitcnt lgkmcnt(0)
	v_add_f64 v[166:167], v[158:159], -v[166:167]
	v_add_f64 v[168:169], v[160:161], -v[168:169]
	;; [unrolled: 1-line block ×5, first 2 shown]
	v_fma_f64 v[162:163], v[162:163], 2.0, -v[174:175]
	v_fma_f64 v[158:159], v[158:159], 2.0, -v[166:167]
	v_add_f64 v[204:205], v[180:181], -v[172:173]
	v_fma_f64 v[170:171], v[178:179], 2.0, -v[188:189]
	v_add_f64 v[206:207], v[0:1], v[184:185]
	v_fma_f64 v[178:179], v[186:187], 2.0, -v[208:209]
	v_add_f64 v[186:187], v[174:175], v[168:169]
	s_mov_b32 s0, 0x667f3bcd
	v_fma_f64 v[164:165], v[164:165], 2.0, -v[176:177]
	v_fma_f64 v[160:161], v[160:161], 2.0, -v[168:169]
	;; [unrolled: 1-line block ×4, first 2 shown]
	v_add_f64 v[180:181], v[162:163], -v[158:159]
	v_add_f64 v[210:211], v[176:177], -v[166:167]
	v_fma_f64 v[174:175], v[174:175], 2.0, -v[186:187]
	s_mov_b32 s1, 0xbfe6a09e
	v_add_f64 v[182:183], v[164:165], -v[160:161]
	v_fma_f64 v[158:159], v[162:163], 2.0, -v[180:181]
	v_fma_f64 v[176:177], v[176:177], 2.0, -v[210:211]
	v_fma_f64 v[166:167], s[0:1], v[174:175], v[0:1]
	s_mov_b32 s9, 0x3fe6a09e
	s_mov_b32 s8, s0
	v_fma_f64 v[160:161], v[164:165], 2.0, -v[182:183]
	v_add_f64 v[158:159], v[170:171], -v[158:159]
	v_fma_f64 v[168:169], s[0:1], v[176:177], v[178:179]
	v_fmac_f64_e32 v[166:167], s[8:9], v[176:177]
	v_add_f64 v[176:177], v[204:205], -v[180:181]
	v_fma_f64 v[184:185], s[8:9], v[210:211], v[208:209]
	v_add_f64 v[142:143], v[126:127], -v[142:143]
	v_add_f64 v[144:145], v[128:129], -v[144:145]
	;; [unrolled: 1-line block ×4, first 2 shown]
	v_fma_f64 v[162:163], v[170:171], 2.0, -v[158:159]
	v_fmac_f64_e32 v[168:169], s[0:1], v[174:175]
	v_fma_f64 v[170:171], v[0:1], 2.0, -v[166:167]
	v_add_f64 v[174:175], v[188:189], v[182:183]
	v_fma_f64 v[180:181], v[204:205], 2.0, -v[176:177]
	v_fmac_f64_e32 v[184:185], s[0:1], v[186:187]
	v_fma_f64 v[0:1], v[126:127], 2.0, -v[142:143]
	v_fma_f64 v[126:127], v[128:129], 2.0, -v[144:145]
	;; [unrolled: 1-line block ×3, first 2 shown]
	v_add_f64 v[146:147], v[130:131], -v[146:147]
	v_add_f64 v[148:149], v[132:133], -v[148:149]
	;; [unrolled: 1-line block ×4, first 2 shown]
	v_fma_f64 v[164:165], v[172:173], 2.0, -v[160:161]
	v_fma_f64 v[172:173], v[178:179], 2.0, -v[168:169]
	;; [unrolled: 1-line block ×3, first 2 shown]
	v_fma_f64 v[182:183], s[8:9], v[186:187], v[206:207]
	v_fma_f64 v[188:189], v[208:209], 2.0, -v[184:185]
	v_add_f64 v[128:129], v[134:135], -v[150:151]
	v_fma_f64 v[130:131], v[130:131], 2.0, -v[146:147]
	v_fma_f64 v[132:133], v[132:133], 2.0, -v[148:149]
	;; [unrolled: 1-line block ×4, first 2 shown]
	v_add_f64 v[208:209], v[126:127], -v[136:137]
	v_fmac_f64_e32 v[182:183], s[8:9], v[210:211]
	v_fma_f64 v[134:135], v[134:135], 2.0, -v[128:129]
	v_fma_f64 v[150:151], v[126:127], 2.0, -v[208:209]
	v_add_f64 v[210:211], v[152:153], v[142:143]
	v_add_f64 v[212:213], v[144:145], -v[128:129]
	v_add_f64 v[126:127], v[130:131], -v[138:139]
	;; [unrolled: 1-line block ×3, first 2 shown]
	v_add_f64 v[138:139], v[156:157], v[146:147]
	v_add_f64 v[140:141], v[148:149], -v[204:205]
	v_fma_f64 v[152:153], v[142:143], 2.0, -v[210:211]
	v_fma_f64 v[154:155], v[144:145], 2.0, -v[212:213]
	;; [unrolled: 1-line block ×5, first 2 shown]
	v_add_f64 v[206:207], v[0:1], -v[134:135]
	v_fma_f64 v[134:135], s[0:1], v[142:143], v[152:153]
	v_fma_f64 v[136:137], s[0:1], v[144:145], v[154:155]
	;; [unrolled: 1-line block ×4, first 2 shown]
	v_fma_f64 v[0:1], v[0:1], 2.0, -v[206:207]
	v_fma_f64 v[130:131], v[130:131], 2.0, -v[126:127]
	v_fma_f64 v[132:133], v[132:133], 2.0, -v[128:129]
	v_fmac_f64_e32 v[134:135], s[8:9], v[144:145]
	v_fmac_f64_e32 v[136:137], s[0:1], v[142:143]
	v_add_f64 v[142:143], v[206:207], v[128:129]
	v_add_f64 v[144:145], v[208:209], -v[126:127]
	v_fmac_f64_e32 v[146:147], s[8:9], v[140:141]
	v_fmac_f64_e32 v[148:149], s[0:1], v[138:139]
	v_add_f64 v[130:131], v[0:1], -v[130:131]
	v_add_f64 v[132:133], v[150:151], -v[132:133]
	v_fma_f64 v[126:127], v[206:207], 2.0, -v[142:143]
	v_fma_f64 v[128:129], v[208:209], 2.0, -v[144:145]
	;; [unrolled: 1-line block ×4, first 2 shown]
	s_barrier
	ds_write_b128 v200, v[162:165]
	ds_write_b128 v200, v[170:173] offset:16
	ds_write_b128 v200, v[178:181] offset:32
	;; [unrolled: 1-line block ×7, first 2 shown]
	s_and_saveexec_b64 s[0:1], vcc
	s_cbranch_execz .LBB0_17
; %bb.16:
	v_fma_f64 v[158:159], v[150:151], 2.0, -v[132:133]
	v_fma_f64 v[156:157], v[0:1], 2.0, -v[130:131]
	v_add_lshl_u32 v0, v198, v201, 4
	v_fma_f64 v[154:155], v[154:155], 2.0, -v[136:137]
	v_fma_f64 v[152:153], v[152:153], 2.0, -v[134:135]
	ds_write_b128 v0, v[156:159]
	ds_write_b128 v0, v[152:155] offset:16
	ds_write_b128 v0, v[126:129] offset:32
	;; [unrolled: 1-line block ×7, first 2 shown]
.LBB0_17:
	s_or_b64 exec, exec, s[0:1]
	s_waitcnt lgkmcnt(0)
	s_barrier
	ds_read_b128 v[150:153], v197
	ds_read_b128 v[154:157], v193 offset:1024
	ds_read_b128 v[158:161], v193 offset:2048
	;; [unrolled: 1-line block ×9, first 2 shown]
	s_waitcnt lgkmcnt(8)
	v_mul_f64 v[0:1], v[60:61], v[156:157]
	v_mul_f64 v[60:61], v[60:61], v[154:155]
	v_fmac_f64_e32 v[0:1], v[58:59], v[154:155]
	v_fma_f64 v[58:59], v[58:59], v[156:157], -v[60:61]
	s_waitcnt lgkmcnt(7)
	v_mul_f64 v[60:61], v[44:45], v[160:161]
	v_mul_f64 v[44:45], v[44:45], v[158:159]
	v_fmac_f64_e32 v[60:61], v[42:43], v[158:159]
	v_fma_f64 v[42:43], v[42:43], v[160:161], -v[44:45]
	;; [unrolled: 5-line block ×8, first 2 shown]
	v_add_f64 v[154:155], v[40:41], v[64:65]
	s_mov_b32 s16, 0x134454ff
	v_fma_f64 v[156:157], -0.5, v[154:155], v[150:151]
	v_add_f64 v[154:155], v[42:43], -v[46:47]
	s_mov_b32 s17, 0xbfee6f0e
	s_mov_b32 s14, 0x4755a5e
	;; [unrolled: 1-line block ×4, first 2 shown]
	v_fma_f64 v[158:159], s[16:17], v[154:155], v[156:157]
	v_add_f64 v[160:161], v[34:35], -v[54:55]
	s_mov_b32 s15, 0xbfe2cf23
	v_add_f64 v[162:163], v[60:61], -v[40:41]
	v_add_f64 v[164:165], v[52:53], -v[64:65]
	s_mov_b32 s12, 0x372fe950
	v_fmac_f64_e32 v[156:157], s[8:9], v[154:155]
	s_mov_b32 s1, 0x3fe2cf23
	s_mov_b32 s0, s14
	v_fmac_f64_e32 v[158:159], s[14:15], v[160:161]
	v_add_f64 v[162:163], v[162:163], v[164:165]
	s_mov_b32 s13, 0x3fd3c6ef
	v_fmac_f64_e32 v[156:157], s[0:1], v[160:161]
	s_waitcnt lgkmcnt(0)
	v_mul_f64 v[48:49], v[76:77], v[188:189]
	v_mul_f64 v[76:77], v[76:77], v[186:187]
	v_fmac_f64_e32 v[158:159], s[12:13], v[162:163]
	v_fmac_f64_e32 v[156:157], s[12:13], v[162:163]
	v_add_f64 v[162:163], v[60:61], v[52:53]
	v_fmac_f64_e32 v[48:49], v[74:75], v[186:187]
	v_fma_f64 v[74:75], v[74:75], v[188:189], -v[76:77]
	v_add_f64 v[76:77], v[150:151], v[60:61]
	v_fmac_f64_e32 v[150:151], -0.5, v[162:163]
	v_fma_f64 v[162:163], s[8:9], v[160:161], v[150:151]
	v_fmac_f64_e32 v[150:151], s[16:17], v[160:161]
	v_fmac_f64_e32 v[162:163], s[14:15], v[154:155]
	;; [unrolled: 1-line block ×3, first 2 shown]
	v_add_f64 v[154:155], v[152:153], v[42:43]
	v_add_f64 v[154:155], v[154:155], v[34:35]
	;; [unrolled: 1-line block ×3, first 2 shown]
	v_add_f64 v[164:165], v[40:41], -v[60:61]
	v_add_f64 v[166:167], v[64:65], -v[52:53]
	v_add_f64 v[154:155], v[154:155], v[54:55]
	v_add_f64 v[76:77], v[76:77], v[64:65]
	;; [unrolled: 1-line block ×6, first 2 shown]
	v_fmac_f64_e32 v[162:163], s[12:13], v[164:165]
	v_fmac_f64_e32 v[150:151], s[12:13], v[164:165]
	v_fma_f64 v[164:165], -0.5, v[154:155], v[152:153]
	v_add_f64 v[52:53], v[60:61], -v[52:53]
	v_fma_f64 v[166:167], s[8:9], v[52:53], v[164:165]
	v_add_f64 v[40:41], v[40:41], -v[64:65]
	v_add_f64 v[60:61], v[42:43], -v[34:35]
	v_add_f64 v[64:65], v[46:47], -v[54:55]
	v_fmac_f64_e32 v[164:165], s[16:17], v[52:53]
	v_fmac_f64_e32 v[166:167], s[0:1], v[40:41]
	v_add_f64 v[60:61], v[60:61], v[64:65]
	v_fmac_f64_e32 v[164:165], s[14:15], v[40:41]
	v_fmac_f64_e32 v[166:167], s[12:13], v[60:61]
	;; [unrolled: 1-line block ×3, first 2 shown]
	v_add_f64 v[60:61], v[42:43], v[46:47]
	v_fmac_f64_e32 v[152:153], -0.5, v[60:61]
	v_fma_f64 v[64:65], s[16:17], v[40:41], v[152:153]
	v_add_f64 v[34:35], v[34:35], -v[42:43]
	v_add_f64 v[42:43], v[54:55], -v[46:47]
	v_fmac_f64_e32 v[152:153], s[8:9], v[40:41]
	v_add_f64 v[40:41], v[36:37], v[56:57]
	v_add_f64 v[34:35], v[34:35], v[42:43]
	v_fma_f64 v[40:41], -0.5, v[40:41], v[0:1]
	v_add_f64 v[42:43], v[38:39], -v[74:75]
	v_fmac_f64_e32 v[64:65], s[0:1], v[52:53]
	v_fmac_f64_e32 v[152:153], s[14:15], v[52:53]
	v_fma_f64 v[52:53], s[16:17], v[42:43], v[40:41]
	v_add_f64 v[46:47], v[62:63], -v[50:51]
	v_add_f64 v[54:55], v[44:45], -v[36:37]
	v_add_f64 v[60:61], v[48:49], -v[56:57]
	v_fmac_f64_e32 v[40:41], s[8:9], v[42:43]
	v_fmac_f64_e32 v[52:53], s[14:15], v[46:47]
	v_add_f64 v[54:55], v[54:55], v[60:61]
	v_fmac_f64_e32 v[40:41], s[0:1], v[46:47]
	v_fmac_f64_e32 v[52:53], s[12:13], v[54:55]
	;; [unrolled: 1-line block ×3, first 2 shown]
	v_add_f64 v[54:55], v[44:45], v[48:49]
	v_fmac_f64_e32 v[64:65], s[12:13], v[34:35]
	v_fmac_f64_e32 v[152:153], s[12:13], v[34:35]
	v_add_f64 v[34:35], v[0:1], v[44:45]
	v_fmac_f64_e32 v[0:1], -0.5, v[54:55]
	v_fma_f64 v[154:155], s[8:9], v[46:47], v[0:1]
	v_fmac_f64_e32 v[0:1], s[16:17], v[46:47]
	v_fmac_f64_e32 v[154:155], s[14:15], v[42:43]
	v_fmac_f64_e32 v[0:1], s[0:1], v[42:43]
	v_add_f64 v[42:43], v[58:59], v[38:39]
	v_add_f64 v[42:43], v[42:43], v[62:63]
	;; [unrolled: 1-line block ×7, first 2 shown]
	v_fma_f64 v[170:171], -0.5, v[42:43], v[58:59]
	v_add_f64 v[42:43], v[44:45], -v[48:49]
	v_add_f64 v[34:35], v[34:35], v[48:49]
	v_add_f64 v[54:55], v[36:37], -v[44:45]
	v_add_f64 v[60:61], v[56:57], -v[48:49]
	v_fma_f64 v[48:49], s[8:9], v[42:43], v[170:171]
	v_add_f64 v[36:37], v[36:37], -v[56:57]
	v_add_f64 v[44:45], v[38:39], -v[62:63]
	;; [unrolled: 1-line block ×3, first 2 shown]
	v_fmac_f64_e32 v[170:171], s[16:17], v[42:43]
	v_fmac_f64_e32 v[48:49], s[0:1], v[36:37]
	v_add_f64 v[44:45], v[44:45], v[46:47]
	v_fmac_f64_e32 v[170:171], s[14:15], v[36:37]
	v_fmac_f64_e32 v[48:49], s[12:13], v[44:45]
	;; [unrolled: 1-line block ×3, first 2 shown]
	v_add_f64 v[44:45], v[38:39], v[74:75]
	v_fmac_f64_e32 v[58:59], -0.5, v[44:45]
	v_fma_f64 v[56:57], s[16:17], v[36:37], v[58:59]
	v_add_f64 v[38:39], v[62:63], -v[38:39]
	v_add_f64 v[44:45], v[50:51], -v[74:75]
	v_fmac_f64_e32 v[58:59], s[8:9], v[36:37]
	v_fmac_f64_e32 v[56:57], s[0:1], v[42:43]
	v_add_f64 v[38:39], v[38:39], v[44:45]
	v_fmac_f64_e32 v[58:59], s[14:15], v[42:43]
	v_fmac_f64_e32 v[56:57], s[12:13], v[38:39]
	;; [unrolled: 1-line block ×3, first 2 shown]
	v_add_f64 v[54:55], v[54:55], v[60:61]
	s_mov_b32 s18, 0x9b97f4a8
	v_mul_f64 v[38:39], v[56:57], s[16:17]
	v_mul_f64 v[172:173], v[58:59], s[16:17]
	s_mov_b32 s17, 0xbfd3c6ef
	s_mov_b32 s16, s12
	v_fmac_f64_e32 v[0:1], s[12:13], v[54:55]
	v_mul_f64 v[36:37], v[48:49], s[14:15]
	s_mov_b32 s19, 0x3fe9e377
	v_mul_f64 v[174:175], v[170:171], s[14:15]
	s_mov_b32 s15, 0xbfe9e377
	s_mov_b32 s14, s18
	v_mul_f64 v[58:59], v[58:59], s[16:17]
	v_fmac_f64_e32 v[154:155], s[12:13], v[54:55]
	v_fmac_f64_e32 v[172:173], s[16:17], v[0:1]
	v_mul_f64 v[176:177], v[48:49], s[18:19]
	v_mul_f64 v[178:179], v[56:57], s[12:13]
	v_fmac_f64_e32 v[58:59], s[8:9], v[0:1]
	v_mul_f64 v[0:1], v[170:171], s[14:15]
	v_fmac_f64_e32 v[36:37], s[18:19], v[52:53]
	v_fmac_f64_e32 v[38:39], s[12:13], v[154:155]
	;; [unrolled: 1-line block ×6, first 2 shown]
	v_add_f64 v[42:43], v[76:77], v[34:35]
	v_add_f64 v[46:47], v[158:159], v[36:37]
	;; [unrolled: 1-line block ×10, first 2 shown]
	v_add_f64 v[74:75], v[76:77], -v[34:35]
	v_add_f64 v[76:77], v[160:161], -v[168:169]
	;; [unrolled: 1-line block ×10, first 2 shown]
	s_barrier
	ds_write_b128 v202, v[42:45]
	ds_write_b128 v202, v[46:49] offset:128
	ds_write_b128 v202, v[50:53] offset:256
	;; [unrolled: 1-line block ×9, first 2 shown]
	s_waitcnt lgkmcnt(0)
	s_barrier
	ds_read_b128 v[42:45], v197
	ds_read_b128 v[150:153], v193 offset:1280
	ds_read_b128 v[74:77], v193 offset:2560
	;; [unrolled: 1-line block ×7, first 2 shown]
	s_and_saveexec_b64 s[0:1], vcc
	s_cbranch_execz .LBB0_19
; %bb.18:
	ds_read_b128 v[34:37], v193 offset:1024
	ds_read_b128 v[38:41], v193 offset:2304
	;; [unrolled: 1-line block ×8, first 2 shown]
.LBB0_19:
	s_or_b64 exec, exec, s[0:1]
	s_waitcnt lgkmcnt(6)
	v_mul_f64 v[0:1], v[112:113], v[152:153]
	v_mul_f64 v[112:113], v[112:113], v[150:151]
	v_fmac_f64_e32 v[0:1], v[110:111], v[150:151]
	v_fma_f64 v[110:111], v[110:111], v[152:153], -v[112:113]
	s_waitcnt lgkmcnt(5)
	v_mul_f64 v[112:113], v[108:109], v[76:77]
	v_fmac_f64_e32 v[112:113], v[106:107], v[74:75]
	v_mul_f64 v[74:75], v[108:109], v[74:75]
	v_fma_f64 v[74:75], v[106:107], v[76:77], -v[74:75]
	s_waitcnt lgkmcnt(4)
	v_mul_f64 v[76:77], v[104:105], v[64:65]
	v_fmac_f64_e32 v[76:77], v[102:103], v[62:63]
	v_mul_f64 v[62:63], v[104:105], v[62:63]
	;; [unrolled: 5-line block ×6, first 2 shown]
	v_fma_f64 v[46:47], v[114:115], v[48:49], -v[46:47]
	v_add_f64 v[58:59], v[44:45], -v[58:59]
	v_add_f64 v[50:51], v[74:75], -v[50:51]
	;; [unrolled: 1-line block ×4, first 2 shown]
	v_fma_f64 v[44:45], v[44:45], 2.0, -v[58:59]
	v_fma_f64 v[74:75], v[74:75], 2.0, -v[50:51]
	;; [unrolled: 1-line block ×4, first 2 shown]
	v_add_f64 v[48:49], v[42:43], -v[64:65]
	v_add_f64 v[56:57], v[112:113], -v[56:57]
	;; [unrolled: 1-line block ×6, first 2 shown]
	v_fma_f64 v[102:103], v[44:45], 2.0, -v[74:75]
	v_add_f64 v[104:105], v[48:49], v[50:51]
	v_add_f64 v[106:107], v[58:59], -v[56:57]
	v_fma_f64 v[44:45], v[98:99], 2.0, -v[62:63]
	v_add_f64 v[98:99], v[60:61], v[46:47]
	v_add_f64 v[108:109], v[54:55], -v[52:53]
	s_mov_b32 s0, 0x667f3bcd
	v_fma_f64 v[64:65], v[112:113], 2.0, -v[56:57]
	v_fma_f64 v[0:1], v[0:1], 2.0, -v[60:61]
	;; [unrolled: 1-line block ×6, first 2 shown]
	s_mov_b32 s1, 0xbfe6a09e
	v_fma_f64 v[42:43], v[42:43], 2.0, -v[48:49]
	v_fma_f64 v[76:77], v[76:77], 2.0, -v[52:53]
	v_fma_f64 v[50:51], s[0:1], v[60:61], v[56:57]
	v_fma_f64 v[52:53], s[0:1], v[54:55], v[58:59]
	s_mov_b32 s9, 0x3fe6a09e
	s_mov_b32 s8, s0
	v_add_f64 v[64:65], v[42:43], -v[64:65]
	v_add_f64 v[76:77], v[0:1], -v[76:77]
	v_fmac_f64_e32 v[50:51], s[8:9], v[54:55]
	v_fmac_f64_e32 v[52:53], s[0:1], v[60:61]
	v_fma_f64 v[100:101], v[42:43], 2.0, -v[64:65]
	v_fma_f64 v[0:1], v[0:1], 2.0, -v[76:77]
	;; [unrolled: 1-line block ×4, first 2 shown]
	v_add_f64 v[58:59], v[64:65], v[62:63]
	v_add_f64 v[60:61], v[74:75], -v[76:77]
	v_add_f64 v[42:43], v[100:101], -v[0:1]
	;; [unrolled: 1-line block ×3, first 2 shown]
	v_fma_f64 v[62:63], v[64:65], 2.0, -v[58:59]
	v_fma_f64 v[64:65], v[74:75], 2.0, -v[60:61]
	v_fma_f64 v[74:75], s[8:9], v[98:99], v[104:105]
	v_fma_f64 v[76:77], s[8:9], v[108:109], v[106:107]
	v_fma_f64 v[46:47], v[100:101], 2.0, -v[42:43]
	v_fma_f64 v[48:49], v[102:103], 2.0, -v[44:45]
	v_fmac_f64_e32 v[74:75], s[8:9], v[108:109]
	v_fmac_f64_e32 v[76:77], s[0:1], v[98:99]
	v_fma_f64 v[98:99], v[104:105], 2.0, -v[74:75]
	v_fma_f64 v[100:101], v[106:107], 2.0, -v[76:77]
	ds_write_b128 v197, v[46:49]
	ds_write_b128 v193, v[54:57] offset:1280
	ds_write_b128 v193, v[62:65] offset:2560
	;; [unrolled: 1-line block ×7, first 2 shown]
	s_and_saveexec_b64 s[12:13], vcc
	s_cbranch_execz .LBB0_21
; %bb.20:
	v_mul_f64 v[48:49], v[72:73], v[128:129]
	v_mul_f64 v[42:43], v[88:89], v[144:145]
	v_fmac_f64_e32 v[48:49], v[70:71], v[126:127]
	v_fmac_f64_e32 v[42:43], v[86:87], v[142:143]
	v_add_f64 v[52:53], v[48:49], -v[42:43]
	v_mul_f64 v[42:43], v[80:81], v[38:39]
	v_fma_f64 v[56:57], v[78:79], v[40:41], -v[42:43]
	v_mul_f64 v[42:43], v[92:93], v[134:135]
	v_fma_f64 v[42:43], v[90:91], v[136:137], -v[42:43]
	v_mul_f64 v[0:1], v[68:69], v[130:131]
	v_add_f64 v[58:59], v[56:57], -v[42:43]
	v_mul_f64 v[50:51], v[84:85], v[140:141]
	v_mul_f64 v[42:43], v[96:97], v[148:149]
	;; [unrolled: 1-line block ×5, first 2 shown]
	v_fma_f64 v[0:1], v[66:67], v[132:133], -v[0:1]
	v_fmac_f64_e32 v[50:51], v[82:83], v[138:139]
	v_fmac_f64_e32 v[42:43], v[94:95], v[146:147]
	v_fma_f64 v[64:65], v[82:83], v[140:141], -v[44:45]
	v_mul_f64 v[44:45], v[96:97], v[146:147]
	v_fmac_f64_e32 v[76:77], v[78:79], v[38:39]
	v_mul_f64 v[38:39], v[92:93], v[136:137]
	v_fma_f64 v[70:71], v[70:71], v[128:129], -v[40:41]
	v_mul_f64 v[40:41], v[88:89], v[142:143]
	v_add_f64 v[0:1], v[36:37], -v[0:1]
	v_add_f64 v[60:61], v[50:51], -v[42:43]
	v_fma_f64 v[44:45], v[94:95], v[148:149], -v[44:45]
	v_fmac_f64_e32 v[38:39], v[90:91], v[134:135]
	v_fma_f64 v[40:41], v[86:87], v[144:145], -v[40:41]
	v_add_f64 v[54:55], v[0:1], -v[52:53]
	v_add_f64 v[62:63], v[58:59], -v[60:61]
	;; [unrolled: 1-line block ×5, first 2 shown]
	v_mul_f64 v[40:41], v[68:69], v[132:133]
	v_fma_f64 v[42:43], s[8:9], v[62:63], v[54:55]
	v_add_f64 v[78:79], v[74:75], v[38:39]
	v_fmac_f64_e32 v[40:41], v[66:67], v[130:131]
	v_fmac_f64_e32 v[42:43], s[0:1], v[78:79]
	v_add_f64 v[66:67], v[34:35], -v[40:41]
	v_fma_f64 v[80:81], v[36:37], 2.0, -v[0:1]
	v_fma_f64 v[84:85], v[56:57], 2.0, -v[58:59]
	;; [unrolled: 1-line block ×5, first 2 shown]
	v_add_f64 v[68:69], v[72:73], v[66:67]
	v_fma_f64 v[36:37], v[70:71], 2.0, -v[72:73]
	v_fma_f64 v[72:73], v[76:77], 2.0, -v[38:39]
	v_fma_f64 v[54:55], s[0:1], v[56:57], v[0:1]
	v_fma_f64 v[38:39], v[38:39], 2.0, -v[78:79]
	v_fmac_f64_e32 v[54:55], s[0:1], v[38:39]
	v_fma_f64 v[76:77], v[34:35], 2.0, -v[66:67]
	v_fma_f64 v[34:35], v[48:49], 2.0, -v[52:53]
	;; [unrolled: 1-line block ×4, first 2 shown]
	v_add_f64 v[82:83], v[76:77], -v[34:35]
	v_fma_f64 v[34:35], v[64:65], 2.0, -v[74:75]
	v_fma_f64 v[52:53], s[0:1], v[38:39], v[0:1]
	v_add_f64 v[70:71], v[80:81], -v[36:37]
	v_add_f64 v[64:65], v[84:85], -v[34:35]
	v_fmac_f64_e32 v[52:53], s[8:9], v[56:57]
	v_fma_f64 v[40:41], s[8:9], v[78:79], v[68:69]
	v_fma_f64 v[36:37], v[50:51], 2.0, -v[60:61]
	v_fma_f64 v[56:57], v[0:1], 2.0, -v[52:53]
	;; [unrolled: 1-line block ×4, first 2 shown]
	v_fmac_f64_e32 v[40:41], s[8:9], v[62:63]
	v_add_f64 v[60:61], v[72:73], -v[36:37]
	v_add_f64 v[62:63], v[0:1], -v[38:39]
	v_fma_f64 v[66:67], v[0:1], 2.0, -v[62:63]
	v_fma_f64 v[0:1], v[76:77], 2.0, -v[82:83]
	v_fma_f64 v[38:39], v[72:73], 2.0, -v[60:61]
	v_add_f64 v[36:37], v[70:71], -v[60:61]
	v_add_f64 v[60:61], v[0:1], -v[38:39]
	v_add_f64 v[34:35], v[82:83], v[64:65]
	v_fma_f64 v[64:65], v[0:1], 2.0, -v[60:61]
	v_fma_f64 v[44:45], v[68:69], 2.0, -v[40:41]
	;; [unrolled: 1-line block ×4, first 2 shown]
	ds_write_b128 v193, v[64:67] offset:1024
	ds_write_b128 v193, v[56:59] offset:2304
	;; [unrolled: 1-line block ×8, first 2 shown]
.LBB0_21:
	s_or_b64 exec, exec, s[12:13]
	s_waitcnt lgkmcnt(0)
	s_barrier
	ds_read_b128 v[34:37], v197
	ds_read_b128 v[38:41], v193 offset:1280
	v_mad_u64_u32 v[44:45], s[0:1], s6, v192, 0
	v_mov_b32_e32 v0, v45
	v_mad_u64_u32 v[0:1], s[0:1], s7, v192, v[0:1]
	v_mov_b32_e32 v45, v0
	s_waitcnt lgkmcnt(1)
	v_mul_f64 v[0:1], v[4:5], v[36:37]
	v_mul_f64 v[4:5], v[4:5], v[34:35]
	v_fmac_f64_e32 v[0:1], v[2:3], v[34:35]
	v_fma_f64 v[2:3], v[2:3], v[36:37], -v[4:5]
	v_mad_u64_u32 v[4:5], s[6:7], s4, v196, 0
	v_mov_b32_e32 v34, v5
	v_mov_b32_e32 v42, s10
	v_mov_b32_e32 v43, s11
	s_mov_b32 s0, 0x9999999a
	v_mad_u64_u32 v[34:35], s[6:7], s5, v196, v[34:35]
	s_mov_b32 s1, 0x3f599999
	v_mov_b32_e32 v5, v34
	v_lshl_add_u64 v[34:35], v[44:45], 4, v[42:43]
	v_mul_f64 v[0:1], v[0:1], s[0:1]
	v_mul_f64 v[2:3], v[2:3], s[0:1]
	v_lshl_add_u64 v[4:5], v[4:5], 4, v[34:35]
	global_store_dwordx4 v[4:5], v[0:3], off
	s_mul_i32 s6, s5, 0x50
	s_mul_hi_u32 s7, s4, 0x50
	s_waitcnt lgkmcnt(0)
	v_mul_f64 v[0:1], v[24:25], v[40:41]
	v_mul_f64 v[2:3], v[24:25], v[38:39]
	v_fmac_f64_e32 v[0:1], v[22:23], v[38:39]
	v_fma_f64 v[2:3], v[22:23], v[40:41], -v[2:3]
	s_add_i32 s7, s7, s6
	s_mul_i32 s6, s4, 0x50
	ds_read_b128 v[22:25], v193 offset:2560
	s_lshl_b64 s[6:7], s[6:7], 4
	v_mul_f64 v[0:1], v[0:1], s[0:1]
	v_mul_f64 v[2:3], v[2:3], s[0:1]
	v_lshl_add_u64 v[34:35], v[4:5], 0, s[6:7]
	global_store_dwordx4 v[34:35], v[0:3], off
	ds_read_b128 v[0:3], v193 offset:3840
	s_waitcnt lgkmcnt(1)
	v_mul_f64 v[4:5], v[8:9], v[24:25]
	v_mul_f64 v[8:9], v[8:9], v[22:23]
	v_fmac_f64_e32 v[4:5], v[6:7], v[22:23]
	v_fma_f64 v[6:7], v[6:7], v[24:25], -v[8:9]
	v_mul_f64 v[4:5], v[4:5], s[0:1]
	v_mul_f64 v[6:7], v[6:7], s[0:1]
	v_lshl_add_u64 v[8:9], v[34:35], 0, s[6:7]
	global_store_dwordx4 v[8:9], v[4:7], off
	s_waitcnt lgkmcnt(0)
	s_nop 0
	v_mul_f64 v[4:5], v[20:21], v[2:3]
	v_fmac_f64_e32 v[4:5], v[18:19], v[0:1]
	v_mul_f64 v[0:1], v[20:21], v[0:1]
	v_fma_f64 v[6:7], v[18:19], v[2:3], -v[0:1]
	ds_read_b128 v[0:3], v193 offset:5120
	v_mul_f64 v[4:5], v[4:5], s[0:1]
	v_mul_f64 v[6:7], v[6:7], s[0:1]
	v_lshl_add_u64 v[18:19], v[8:9], 0, s[6:7]
	global_store_dwordx4 v[18:19], v[4:7], off
	ds_read_b128 v[4:7], v193 offset:6400
	s_waitcnt lgkmcnt(1)
	v_mul_f64 v[8:9], v[12:13], v[2:3]
	v_fmac_f64_e32 v[8:9], v[10:11], v[0:1]
	v_mul_f64 v[0:1], v[12:13], v[0:1]
	v_fma_f64 v[0:1], v[10:11], v[2:3], -v[0:1]
	v_mul_f64 v[10:11], v[0:1], s[0:1]
	s_waitcnt lgkmcnt(0)
	v_mul_f64 v[0:1], v[28:29], v[6:7]
	v_mul_f64 v[2:3], v[28:29], v[4:5]
	v_fmac_f64_e32 v[0:1], v[26:27], v[4:5]
	v_fma_f64 v[2:3], v[26:27], v[6:7], -v[2:3]
	ds_read_b128 v[4:7], v193 offset:7680
	v_mul_f64 v[8:9], v[8:9], s[0:1]
	v_lshl_add_u64 v[12:13], v[18:19], 0, s[6:7]
	global_store_dwordx4 v[12:13], v[8:11], off
	v_mul_f64 v[0:1], v[0:1], s[0:1]
	v_mul_f64 v[2:3], v[2:3], s[0:1]
	v_lshl_add_u64 v[12:13], v[12:13], 0, s[6:7]
	global_store_dwordx4 v[12:13], v[0:3], off
	ds_read_b128 v[0:3], v193 offset:8960
	s_waitcnt lgkmcnt(1)
	v_mul_f64 v[8:9], v[16:17], v[6:7]
	v_fmac_f64_e32 v[8:9], v[14:15], v[4:5]
	v_mul_f64 v[4:5], v[16:17], v[4:5]
	v_fma_f64 v[4:5], v[14:15], v[6:7], -v[4:5]
	v_mul_f64 v[10:11], v[4:5], s[0:1]
	s_waitcnt lgkmcnt(0)
	v_mul_f64 v[4:5], v[32:33], v[2:3]
	v_fmac_f64_e32 v[4:5], v[30:31], v[0:1]
	v_mul_f64 v[0:1], v[32:33], v[0:1]
	v_lshl_add_u64 v[12:13], v[12:13], 0, s[6:7]
	v_fma_f64 v[0:1], v[30:31], v[2:3], -v[0:1]
	v_mul_f64 v[8:9], v[8:9], s[0:1]
	v_mul_f64 v[4:5], v[4:5], s[0:1]
	;; [unrolled: 1-line block ×3, first 2 shown]
	v_lshl_add_u64 v[0:1], v[12:13], 0, s[6:7]
	global_store_dwordx4 v[12:13], v[8:11], off
	global_store_dwordx4 v[0:1], v[4:7], off
	s_and_b64 exec, exec, vcc
	s_cbranch_execz .LBB0_23
; %bb.22:
	s_movk_i32 s8, 0x1000
	v_add_co_u32_e32 v34, vcc, s8, v190
	global_load_dwordx4 v[2:5], v[190:191], off offset:1024
	global_load_dwordx4 v[6:9], v[190:191], off offset:2304
	;; [unrolled: 1-line block ×3, first 2 shown]
	v_addc_co_u32_e32 v35, vcc, 0, v191, vcc
	global_load_dwordx4 v[14:17], v[34:35], off offset:768
	ds_read_b128 v[18:21], v193 offset:1024
	ds_read_b128 v[22:25], v193 offset:2304
	;; [unrolled: 1-line block ×4, first 2 shown]
	v_mov_b32_e32 v36, 0xffffe100
	s_mulk_i32 s5, 0xe100
	v_mad_u64_u32 v[36:37], s[8:9], s4, v36, v[0:1]
	s_sub_i32 s4, s5, s4
	v_add_u32_e32 v37, s4, v37
	v_lshl_add_u64 v[38:39], v[36:37], 0, s[6:7]
	v_lshl_add_u64 v[40:41], v[38:39], 0, s[6:7]
	;; [unrolled: 1-line block ×3, first 2 shown]
	s_waitcnt vmcnt(3) lgkmcnt(3)
	v_mul_f64 v[0:1], v[20:21], v[4:5]
	v_mul_f64 v[4:5], v[18:19], v[4:5]
	s_waitcnt vmcnt(2) lgkmcnt(2)
	v_mul_f64 v[44:45], v[24:25], v[8:9]
	v_mul_f64 v[8:9], v[22:23], v[8:9]
	;; [unrolled: 3-line block ×3, first 2 shown]
	v_fmac_f64_e32 v[0:1], v[18:19], v[2:3]
	v_fma_f64 v[2:3], v[2:3], v[20:21], -v[4:5]
	v_fmac_f64_e32 v[44:45], v[22:23], v[6:7]
	v_fma_f64 v[6:7], v[6:7], v[24:25], -v[8:9]
	;; [unrolled: 2-line block ×3, first 2 shown]
	v_mul_f64 v[0:1], v[0:1], s[0:1]
	v_mul_f64 v[2:3], v[2:3], s[0:1]
	s_waitcnt vmcnt(0) lgkmcnt(0)
	v_mul_f64 v[12:13], v[32:33], v[16:17]
	v_mul_f64 v[16:17], v[30:31], v[16:17]
	;; [unrolled: 1-line block ×6, first 2 shown]
	global_store_dwordx4 v[36:37], v[0:3], off
	global_store_dwordx4 v[38:39], v[4:7], off
	;; [unrolled: 1-line block ×3, first 2 shown]
	v_fmac_f64_e32 v[12:13], v[30:31], v[14:15]
	v_fma_f64 v[2:3], v[14:15], v[32:33], -v[16:17]
	v_mul_f64 v[0:1], v[12:13], s[0:1]
	v_mul_f64 v[2:3], v[2:3], s[0:1]
	global_store_dwordx4 v[42:43], v[0:3], off
	global_load_dwordx4 v[0:3], v194, s[2:3]
	ds_read_b128 v[4:7], v193 offset:6144
	ds_read_b128 v[8:11], v193 offset:7424
	v_lshl_add_u64 v[12:13], v[42:43], 0, s[6:7]
	s_movk_i32 s2, 0x2000
	s_waitcnt vmcnt(0) lgkmcnt(1)
	v_mul_f64 v[14:15], v[6:7], v[2:3]
	v_mul_f64 v[2:3], v[4:5], v[2:3]
	v_fmac_f64_e32 v[14:15], v[4:5], v[0:1]
	v_fma_f64 v[2:3], v[0:1], v[6:7], -v[2:3]
	v_mul_f64 v[0:1], v[14:15], s[0:1]
	v_mul_f64 v[2:3], v[2:3], s[0:1]
	global_store_dwordx4 v[12:13], v[0:3], off
	global_load_dwordx4 v[0:3], v[34:35], off offset:3328
	v_add_co_u32_e32 v14, vcc, s2, v190
	v_lshl_add_u64 v[12:13], v[12:13], 0, s[6:7]
	s_nop 0
	v_addc_co_u32_e32 v15, vcc, 0, v191, vcc
	s_waitcnt vmcnt(0) lgkmcnt(0)
	v_mul_f64 v[4:5], v[10:11], v[2:3]
	v_mul_f64 v[2:3], v[8:9], v[2:3]
	v_fmac_f64_e32 v[4:5], v[8:9], v[0:1]
	v_fma_f64 v[2:3], v[0:1], v[10:11], -v[2:3]
	v_mul_f64 v[0:1], v[4:5], s[0:1]
	v_mul_f64 v[2:3], v[2:3], s[0:1]
	global_store_dwordx4 v[12:13], v[0:3], off
	global_load_dwordx4 v[0:3], v[14:15], off offset:512
	ds_read_b128 v[4:7], v193 offset:8704
	ds_read_b128 v[8:11], v193 offset:9984
	v_lshl_add_u64 v[12:13], v[12:13], 0, s[6:7]
	s_waitcnt vmcnt(0) lgkmcnt(1)
	v_mul_f64 v[16:17], v[6:7], v[2:3]
	v_mul_f64 v[2:3], v[4:5], v[2:3]
	v_fmac_f64_e32 v[16:17], v[4:5], v[0:1]
	v_fma_f64 v[2:3], v[0:1], v[6:7], -v[2:3]
	v_mul_f64 v[0:1], v[16:17], s[0:1]
	v_mul_f64 v[2:3], v[2:3], s[0:1]
	global_store_dwordx4 v[12:13], v[0:3], off
	global_load_dwordx4 v[0:3], v[14:15], off offset:1792
	s_waitcnt vmcnt(0) lgkmcnt(0)
	v_mul_f64 v[4:5], v[10:11], v[2:3]
	v_mul_f64 v[2:3], v[8:9], v[2:3]
	v_fmac_f64_e32 v[4:5], v[8:9], v[0:1]
	v_fma_f64 v[2:3], v[0:1], v[10:11], -v[2:3]
	v_mul_f64 v[0:1], v[4:5], s[0:1]
	v_mul_f64 v[2:3], v[2:3], s[0:1]
	v_lshl_add_u64 v[4:5], v[12:13], 0, s[6:7]
	global_store_dwordx4 v[4:5], v[0:3], off
.LBB0_23:
	s_endpgm
	.section	.rodata,"a",@progbits
	.p2align	6, 0x0
	.amdhsa_kernel bluestein_single_fwd_len640_dim1_dp_op_CI_CI
		.amdhsa_group_segment_fixed_size 20480
		.amdhsa_private_segment_fixed_size 0
		.amdhsa_kernarg_size 104
		.amdhsa_user_sgpr_count 2
		.amdhsa_user_sgpr_dispatch_ptr 0
		.amdhsa_user_sgpr_queue_ptr 0
		.amdhsa_user_sgpr_kernarg_segment_ptr 1
		.amdhsa_user_sgpr_dispatch_id 0
		.amdhsa_user_sgpr_kernarg_preload_length 0
		.amdhsa_user_sgpr_kernarg_preload_offset 0
		.amdhsa_user_sgpr_private_segment_size 0
		.amdhsa_uses_dynamic_stack 0
		.amdhsa_enable_private_segment 0
		.amdhsa_system_sgpr_workgroup_id_x 1
		.amdhsa_system_sgpr_workgroup_id_y 0
		.amdhsa_system_sgpr_workgroup_id_z 0
		.amdhsa_system_sgpr_workgroup_info 0
		.amdhsa_system_vgpr_workitem_id 0
		.amdhsa_next_free_vgpr 254
		.amdhsa_next_free_sgpr 22
		.amdhsa_accum_offset 256
		.amdhsa_reserve_vcc 1
		.amdhsa_float_round_mode_32 0
		.amdhsa_float_round_mode_16_64 0
		.amdhsa_float_denorm_mode_32 3
		.amdhsa_float_denorm_mode_16_64 3
		.amdhsa_dx10_clamp 1
		.amdhsa_ieee_mode 1
		.amdhsa_fp16_overflow 0
		.amdhsa_tg_split 0
		.amdhsa_exception_fp_ieee_invalid_op 0
		.amdhsa_exception_fp_denorm_src 0
		.amdhsa_exception_fp_ieee_div_zero 0
		.amdhsa_exception_fp_ieee_overflow 0
		.amdhsa_exception_fp_ieee_underflow 0
		.amdhsa_exception_fp_ieee_inexact 0
		.amdhsa_exception_int_div_zero 0
	.end_amdhsa_kernel
	.text
.Lfunc_end0:
	.size	bluestein_single_fwd_len640_dim1_dp_op_CI_CI, .Lfunc_end0-bluestein_single_fwd_len640_dim1_dp_op_CI_CI
                                        ; -- End function
	.section	.AMDGPU.csdata,"",@progbits
; Kernel info:
; codeLenInByte = 12520
; NumSgprs: 28
; NumVgprs: 254
; NumAgprs: 0
; TotalNumVgprs: 254
; ScratchSize: 0
; MemoryBound: 0
; FloatMode: 240
; IeeeMode: 1
; LDSByteSize: 20480 bytes/workgroup (compile time only)
; SGPRBlocks: 3
; VGPRBlocks: 31
; NumSGPRsForWavesPerEU: 28
; NumVGPRsForWavesPerEU: 254
; AccumOffset: 256
; Occupancy: 2
; WaveLimiterHint : 1
; COMPUTE_PGM_RSRC2:SCRATCH_EN: 0
; COMPUTE_PGM_RSRC2:USER_SGPR: 2
; COMPUTE_PGM_RSRC2:TRAP_HANDLER: 0
; COMPUTE_PGM_RSRC2:TGID_X_EN: 1
; COMPUTE_PGM_RSRC2:TGID_Y_EN: 0
; COMPUTE_PGM_RSRC2:TGID_Z_EN: 0
; COMPUTE_PGM_RSRC2:TIDIG_COMP_CNT: 0
; COMPUTE_PGM_RSRC3_GFX90A:ACCUM_OFFSET: 63
; COMPUTE_PGM_RSRC3_GFX90A:TG_SPLIT: 0
	.text
	.p2alignl 6, 3212836864
	.fill 256, 4, 3212836864
	.type	__hip_cuid_63414c240a9180be,@object ; @__hip_cuid_63414c240a9180be
	.section	.bss,"aw",@nobits
	.globl	__hip_cuid_63414c240a9180be
__hip_cuid_63414c240a9180be:
	.byte	0                               ; 0x0
	.size	__hip_cuid_63414c240a9180be, 1

	.ident	"AMD clang version 19.0.0git (https://github.com/RadeonOpenCompute/llvm-project roc-6.4.0 25133 c7fe45cf4b819c5991fe208aaa96edf142730f1d)"
	.section	".note.GNU-stack","",@progbits
	.addrsig
	.addrsig_sym __hip_cuid_63414c240a9180be
	.amdgpu_metadata
---
amdhsa.kernels:
  - .agpr_count:     0
    .args:
      - .actual_access:  read_only
        .address_space:  global
        .offset:         0
        .size:           8
        .value_kind:     global_buffer
      - .actual_access:  read_only
        .address_space:  global
        .offset:         8
        .size:           8
        .value_kind:     global_buffer
      - .actual_access:  read_only
        .address_space:  global
        .offset:         16
        .size:           8
        .value_kind:     global_buffer
      - .actual_access:  read_only
        .address_space:  global
        .offset:         24
        .size:           8
        .value_kind:     global_buffer
      - .actual_access:  read_only
        .address_space:  global
        .offset:         32
        .size:           8
        .value_kind:     global_buffer
      - .offset:         40
        .size:           8
        .value_kind:     by_value
      - .address_space:  global
        .offset:         48
        .size:           8
        .value_kind:     global_buffer
      - .address_space:  global
        .offset:         56
        .size:           8
        .value_kind:     global_buffer
      - .address_space:  global
        .offset:         64
        .size:           8
        .value_kind:     global_buffer
      - .address_space:  global
        .offset:         72
        .size:           8
        .value_kind:     global_buffer
      - .offset:         80
        .size:           4
        .value_kind:     by_value
      - .address_space:  global
        .offset:         88
        .size:           8
        .value_kind:     global_buffer
      - .address_space:  global
        .offset:         96
        .size:           8
        .value_kind:     global_buffer
    .group_segment_fixed_size: 20480
    .kernarg_segment_align: 8
    .kernarg_segment_size: 104
    .language:       OpenCL C
    .language_version:
      - 2
      - 0
    .max_flat_workgroup_size: 128
    .name:           bluestein_single_fwd_len640_dim1_dp_op_CI_CI
    .private_segment_fixed_size: 0
    .sgpr_count:     28
    .sgpr_spill_count: 0
    .symbol:         bluestein_single_fwd_len640_dim1_dp_op_CI_CI.kd
    .uniform_work_group_size: 1
    .uses_dynamic_stack: false
    .vgpr_count:     254
    .vgpr_spill_count: 0
    .wavefront_size: 64
amdhsa.target:   amdgcn-amd-amdhsa--gfx950
amdhsa.version:
  - 1
  - 2
...

	.end_amdgpu_metadata
